;; amdgpu-corpus repo=ROCm/rocFFT kind=compiled arch=gfx1201 opt=O3
	.text
	.amdgcn_target "amdgcn-amd-amdhsa--gfx1201"
	.amdhsa_code_object_version 6
	.protected	fft_rtc_back_len1768_factors_17_13_8_wgs_136_tpt_136_halfLds_sp_op_CI_CI_unitstride_sbrr_C2R_dirReg ; -- Begin function fft_rtc_back_len1768_factors_17_13_8_wgs_136_tpt_136_halfLds_sp_op_CI_CI_unitstride_sbrr_C2R_dirReg
	.globl	fft_rtc_back_len1768_factors_17_13_8_wgs_136_tpt_136_halfLds_sp_op_CI_CI_unitstride_sbrr_C2R_dirReg
	.p2align	8
	.type	fft_rtc_back_len1768_factors_17_13_8_wgs_136_tpt_136_halfLds_sp_op_CI_CI_unitstride_sbrr_C2R_dirReg,@function
fft_rtc_back_len1768_factors_17_13_8_wgs_136_tpt_136_halfLds_sp_op_CI_CI_unitstride_sbrr_C2R_dirReg: ; @fft_rtc_back_len1768_factors_17_13_8_wgs_136_tpt_136_halfLds_sp_op_CI_CI_unitstride_sbrr_C2R_dirReg
; %bb.0:
	s_clause 0x2
	s_load_b128 s[8:11], s[0:1], 0x0
	s_load_b128 s[4:7], s[0:1], 0x58
	;; [unrolled: 1-line block ×3, first 2 shown]
	v_mul_u32_u24_e32 v1, 0x1e2, v0
	v_mov_b32_e32 v3, 0
	s_delay_alu instid0(VALU_DEP_2) | instskip(NEXT) | instid1(VALU_DEP_1)
	v_lshrrev_b32_e32 v1, 16, v1
	v_add_nc_u32_e32 v5, ttmp9, v1
	v_mov_b32_e32 v1, 0
	v_mov_b32_e32 v2, 0
	;; [unrolled: 1-line block ×3, first 2 shown]
	s_wait_kmcnt 0x0
	v_cmp_lt_u64_e64 s2, s[10:11], 2
	s_delay_alu instid0(VALU_DEP_1)
	s_and_b32 vcc_lo, exec_lo, s2
	s_cbranch_vccnz .LBB0_8
; %bb.1:
	s_load_b64 s[2:3], s[0:1], 0x10
	v_mov_b32_e32 v1, 0
	v_mov_b32_e32 v2, 0
	s_add_nc_u64 s[16:17], s[14:15], 8
	s_add_nc_u64 s[18:19], s[12:13], 8
	s_mov_b64 s[20:21], 1
	s_delay_alu instid0(VALU_DEP_1)
	v_dual_mov_b32 v41, v2 :: v_dual_mov_b32 v40, v1
	s_wait_kmcnt 0x0
	s_add_nc_u64 s[22:23], s[2:3], 8
	s_mov_b32 s3, 0
.LBB0_2:                                ; =>This Inner Loop Header: Depth=1
	s_load_b64 s[24:25], s[22:23], 0x0
                                        ; implicit-def: $vgpr44_vgpr45
	s_mov_b32 s2, exec_lo
	s_wait_kmcnt 0x0
	v_or_b32_e32 v4, s25, v6
	s_delay_alu instid0(VALU_DEP_1)
	v_cmpx_ne_u64_e32 0, v[3:4]
	s_wait_alu 0xfffe
	s_xor_b32 s26, exec_lo, s2
	s_cbranch_execz .LBB0_4
; %bb.3:                                ;   in Loop: Header=BB0_2 Depth=1
	s_cvt_f32_u32 s2, s24
	s_cvt_f32_u32 s27, s25
	s_sub_nc_u64 s[30:31], 0, s[24:25]
	s_wait_alu 0xfffe
	s_delay_alu instid0(SALU_CYCLE_1) | instskip(SKIP_1) | instid1(SALU_CYCLE_2)
	s_fmamk_f32 s2, s27, 0x4f800000, s2
	s_wait_alu 0xfffe
	v_s_rcp_f32 s2, s2
	s_delay_alu instid0(TRANS32_DEP_1) | instskip(SKIP_1) | instid1(SALU_CYCLE_2)
	s_mul_f32 s2, s2, 0x5f7ffffc
	s_wait_alu 0xfffe
	s_mul_f32 s27, s2, 0x2f800000
	s_wait_alu 0xfffe
	s_delay_alu instid0(SALU_CYCLE_2) | instskip(SKIP_1) | instid1(SALU_CYCLE_2)
	s_trunc_f32 s27, s27
	s_wait_alu 0xfffe
	s_fmamk_f32 s2, s27, 0xcf800000, s2
	s_cvt_u32_f32 s29, s27
	s_wait_alu 0xfffe
	s_delay_alu instid0(SALU_CYCLE_1) | instskip(SKIP_1) | instid1(SALU_CYCLE_2)
	s_cvt_u32_f32 s28, s2
	s_wait_alu 0xfffe
	s_mul_u64 s[34:35], s[30:31], s[28:29]
	s_wait_alu 0xfffe
	s_mul_hi_u32 s37, s28, s35
	s_mul_i32 s36, s28, s35
	s_mul_hi_u32 s2, s28, s34
	s_mul_i32 s33, s29, s34
	s_wait_alu 0xfffe
	s_add_nc_u64 s[36:37], s[2:3], s[36:37]
	s_mul_hi_u32 s27, s29, s34
	s_mul_hi_u32 s38, s29, s35
	s_add_co_u32 s2, s36, s33
	s_wait_alu 0xfffe
	s_add_co_ci_u32 s2, s37, s27
	s_mul_i32 s34, s29, s35
	s_add_co_ci_u32 s35, s38, 0
	s_wait_alu 0xfffe
	s_add_nc_u64 s[34:35], s[2:3], s[34:35]
	s_wait_alu 0xfffe
	v_add_co_u32 v4, s2, s28, s34
	s_delay_alu instid0(VALU_DEP_1) | instskip(SKIP_1) | instid1(VALU_DEP_1)
	s_cmp_lg_u32 s2, 0
	s_add_co_ci_u32 s29, s29, s35
	v_readfirstlane_b32 s28, v4
	s_wait_alu 0xfffe
	s_delay_alu instid0(VALU_DEP_1)
	s_mul_u64 s[30:31], s[30:31], s[28:29]
	s_wait_alu 0xfffe
	s_mul_hi_u32 s35, s28, s31
	s_mul_i32 s34, s28, s31
	s_mul_hi_u32 s2, s28, s30
	s_mul_i32 s33, s29, s30
	s_wait_alu 0xfffe
	s_add_nc_u64 s[34:35], s[2:3], s[34:35]
	s_mul_hi_u32 s27, s29, s30
	s_mul_hi_u32 s28, s29, s31
	s_wait_alu 0xfffe
	s_add_co_u32 s2, s34, s33
	s_add_co_ci_u32 s2, s35, s27
	s_mul_i32 s30, s29, s31
	s_add_co_ci_u32 s31, s28, 0
	s_wait_alu 0xfffe
	s_add_nc_u64 s[30:31], s[2:3], s[30:31]
	s_wait_alu 0xfffe
	v_add_co_u32 v4, s2, v4, s30
	s_delay_alu instid0(VALU_DEP_1) | instskip(SKIP_1) | instid1(VALU_DEP_1)
	s_cmp_lg_u32 s2, 0
	s_add_co_ci_u32 s2, s29, s31
	v_mul_hi_u32 v13, v5, v4
	s_wait_alu 0xfffe
	v_mad_co_u64_u32 v[7:8], null, v5, s2, 0
	v_mad_co_u64_u32 v[9:10], null, v6, v4, 0
	;; [unrolled: 1-line block ×3, first 2 shown]
	s_delay_alu instid0(VALU_DEP_3) | instskip(SKIP_1) | instid1(VALU_DEP_4)
	v_add_co_u32 v4, vcc_lo, v13, v7
	s_wait_alu 0xfffd
	v_add_co_ci_u32_e32 v7, vcc_lo, 0, v8, vcc_lo
	s_delay_alu instid0(VALU_DEP_2) | instskip(SKIP_1) | instid1(VALU_DEP_2)
	v_add_co_u32 v4, vcc_lo, v4, v9
	s_wait_alu 0xfffd
	v_add_co_ci_u32_e32 v4, vcc_lo, v7, v10, vcc_lo
	s_wait_alu 0xfffd
	v_add_co_ci_u32_e32 v7, vcc_lo, 0, v12, vcc_lo
	s_delay_alu instid0(VALU_DEP_2) | instskip(SKIP_1) | instid1(VALU_DEP_2)
	v_add_co_u32 v4, vcc_lo, v4, v11
	s_wait_alu 0xfffd
	v_add_co_ci_u32_e32 v9, vcc_lo, 0, v7, vcc_lo
	s_delay_alu instid0(VALU_DEP_2) | instskip(SKIP_1) | instid1(VALU_DEP_3)
	v_mul_lo_u32 v10, s25, v4
	v_mad_co_u64_u32 v[7:8], null, s24, v4, 0
	v_mul_lo_u32 v11, s24, v9
	s_delay_alu instid0(VALU_DEP_2) | instskip(NEXT) | instid1(VALU_DEP_2)
	v_sub_co_u32 v7, vcc_lo, v5, v7
	v_add3_u32 v8, v8, v11, v10
	s_delay_alu instid0(VALU_DEP_1) | instskip(SKIP_1) | instid1(VALU_DEP_1)
	v_sub_nc_u32_e32 v10, v6, v8
	s_wait_alu 0xfffd
	v_subrev_co_ci_u32_e64 v10, s2, s25, v10, vcc_lo
	v_add_co_u32 v11, s2, v4, 2
	s_wait_alu 0xf1ff
	v_add_co_ci_u32_e64 v12, s2, 0, v9, s2
	v_sub_co_u32 v13, s2, v7, s24
	v_sub_co_ci_u32_e32 v8, vcc_lo, v6, v8, vcc_lo
	s_wait_alu 0xf1ff
	v_subrev_co_ci_u32_e64 v10, s2, 0, v10, s2
	s_delay_alu instid0(VALU_DEP_3) | instskip(NEXT) | instid1(VALU_DEP_3)
	v_cmp_le_u32_e32 vcc_lo, s24, v13
	v_cmp_eq_u32_e64 s2, s25, v8
	s_wait_alu 0xfffd
	v_cndmask_b32_e64 v13, 0, -1, vcc_lo
	v_cmp_le_u32_e32 vcc_lo, s25, v10
	s_wait_alu 0xfffd
	v_cndmask_b32_e64 v14, 0, -1, vcc_lo
	v_cmp_le_u32_e32 vcc_lo, s24, v7
	;; [unrolled: 3-line block ×3, first 2 shown]
	s_wait_alu 0xfffd
	v_cndmask_b32_e64 v15, 0, -1, vcc_lo
	v_cmp_eq_u32_e32 vcc_lo, s25, v10
	s_wait_alu 0xf1ff
	s_delay_alu instid0(VALU_DEP_2)
	v_cndmask_b32_e64 v7, v15, v7, s2
	s_wait_alu 0xfffd
	v_cndmask_b32_e32 v10, v14, v13, vcc_lo
	v_add_co_u32 v13, vcc_lo, v4, 1
	s_wait_alu 0xfffd
	v_add_co_ci_u32_e32 v14, vcc_lo, 0, v9, vcc_lo
	s_delay_alu instid0(VALU_DEP_3) | instskip(SKIP_1) | instid1(VALU_DEP_2)
	v_cmp_ne_u32_e32 vcc_lo, 0, v10
	s_wait_alu 0xfffd
	v_cndmask_b32_e32 v8, v14, v12, vcc_lo
	v_cndmask_b32_e32 v10, v13, v11, vcc_lo
	v_cmp_ne_u32_e32 vcc_lo, 0, v7
	s_wait_alu 0xfffd
	s_delay_alu instid0(VALU_DEP_2)
	v_dual_cndmask_b32 v45, v9, v8 :: v_dual_cndmask_b32 v44, v4, v10
.LBB0_4:                                ;   in Loop: Header=BB0_2 Depth=1
	s_wait_alu 0xfffe
	s_and_not1_saveexec_b32 s2, s26
	s_cbranch_execz .LBB0_6
; %bb.5:                                ;   in Loop: Header=BB0_2 Depth=1
	v_cvt_f32_u32_e32 v4, s24
	s_sub_co_i32 s26, 0, s24
	v_mov_b32_e32 v45, v3
	s_delay_alu instid0(VALU_DEP_2) | instskip(NEXT) | instid1(TRANS32_DEP_1)
	v_rcp_iflag_f32_e32 v4, v4
	v_mul_f32_e32 v4, 0x4f7ffffe, v4
	s_delay_alu instid0(VALU_DEP_1) | instskip(SKIP_1) | instid1(VALU_DEP_1)
	v_cvt_u32_f32_e32 v4, v4
	s_wait_alu 0xfffe
	v_mul_lo_u32 v7, s26, v4
	s_delay_alu instid0(VALU_DEP_1) | instskip(NEXT) | instid1(VALU_DEP_1)
	v_mul_hi_u32 v7, v4, v7
	v_add_nc_u32_e32 v4, v4, v7
	s_delay_alu instid0(VALU_DEP_1) | instskip(NEXT) | instid1(VALU_DEP_1)
	v_mul_hi_u32 v4, v5, v4
	v_mul_lo_u32 v7, v4, s24
	v_add_nc_u32_e32 v8, 1, v4
	s_delay_alu instid0(VALU_DEP_2) | instskip(NEXT) | instid1(VALU_DEP_1)
	v_sub_nc_u32_e32 v7, v5, v7
	v_subrev_nc_u32_e32 v9, s24, v7
	v_cmp_le_u32_e32 vcc_lo, s24, v7
	s_wait_alu 0xfffd
	s_delay_alu instid0(VALU_DEP_2) | instskip(NEXT) | instid1(VALU_DEP_1)
	v_dual_cndmask_b32 v7, v7, v9 :: v_dual_cndmask_b32 v4, v4, v8
	v_cmp_le_u32_e32 vcc_lo, s24, v7
	s_delay_alu instid0(VALU_DEP_2) | instskip(SKIP_1) | instid1(VALU_DEP_1)
	v_add_nc_u32_e32 v8, 1, v4
	s_wait_alu 0xfffd
	v_cndmask_b32_e32 v44, v4, v8, vcc_lo
.LBB0_6:                                ;   in Loop: Header=BB0_2 Depth=1
	s_wait_alu 0xfffe
	s_or_b32 exec_lo, exec_lo, s2
	v_mul_lo_u32 v4, v45, s24
	s_delay_alu instid0(VALU_DEP_2)
	v_mul_lo_u32 v9, v44, s25
	s_load_b64 s[26:27], s[18:19], 0x0
	v_mad_co_u64_u32 v[7:8], null, v44, s24, 0
	s_load_b64 s[24:25], s[16:17], 0x0
	s_add_nc_u64 s[20:21], s[20:21], 1
	s_add_nc_u64 s[16:17], s[16:17], 8
	s_wait_alu 0xfffe
	v_cmp_ge_u64_e64 s2, s[20:21], s[10:11]
	s_add_nc_u64 s[18:19], s[18:19], 8
	s_add_nc_u64 s[22:23], s[22:23], 8
	v_add3_u32 v4, v8, v9, v4
	v_sub_co_u32 v5, vcc_lo, v5, v7
	s_wait_alu 0xfffd
	s_delay_alu instid0(VALU_DEP_2) | instskip(SKIP_2) | instid1(VALU_DEP_1)
	v_sub_co_ci_u32_e32 v4, vcc_lo, v6, v4, vcc_lo
	s_and_b32 vcc_lo, exec_lo, s2
	s_wait_kmcnt 0x0
	v_mul_lo_u32 v6, s26, v4
	v_mul_lo_u32 v7, s27, v5
	v_mad_co_u64_u32 v[1:2], null, s26, v5, v[1:2]
	v_mul_lo_u32 v4, s24, v4
	v_mul_lo_u32 v8, s25, v5
	v_mad_co_u64_u32 v[40:41], null, s24, v5, v[40:41]
	s_delay_alu instid0(VALU_DEP_4) | instskip(NEXT) | instid1(VALU_DEP_2)
	v_add3_u32 v2, v7, v2, v6
	v_add3_u32 v41, v8, v41, v4
	s_wait_alu 0xfffe
	s_cbranch_vccnz .LBB0_9
; %bb.7:                                ;   in Loop: Header=BB0_2 Depth=1
	v_dual_mov_b32 v5, v44 :: v_dual_mov_b32 v6, v45
	s_branch .LBB0_2
.LBB0_8:
	v_dual_mov_b32 v41, v2 :: v_dual_mov_b32 v40, v1
	v_dual_mov_b32 v45, v6 :: v_dual_mov_b32 v44, v5
.LBB0_9:
	s_load_b64 s[0:1], s[0:1], 0x28
	v_mul_hi_u32 v3, 0x1e1e1e2, v0
	s_lshl_b64 s[10:11], s[10:11], 3
                                        ; implicit-def: $vgpr42
	s_wait_alu 0xfffe
	s_add_nc_u64 s[2:3], s[14:15], s[10:11]
	s_wait_kmcnt 0x0
	v_cmp_gt_u64_e32 vcc_lo, s[0:1], v[44:45]
	v_cmp_le_u64_e64 s0, s[0:1], v[44:45]
	s_delay_alu instid0(VALU_DEP_1)
	s_and_saveexec_b32 s1, s0
	s_wait_alu 0xfffe
	s_xor_b32 s0, exec_lo, s1
; %bb.10:
	v_mul_u32_u24_e32 v1, 0x88, v3
                                        ; implicit-def: $vgpr3
	s_delay_alu instid0(VALU_DEP_1)
	v_sub_nc_u32_e32 v42, v0, v1
                                        ; implicit-def: $vgpr0
                                        ; implicit-def: $vgpr1_vgpr2
; %bb.11:
	s_wait_alu 0xfffe
	s_or_saveexec_b32 s1, s0
	s_load_b64 s[2:3], s[2:3], 0x0
	s_xor_b32 exec_lo, exec_lo, s1
	s_cbranch_execz .LBB0_15
; %bb.12:
	s_add_nc_u64 s[10:11], s[12:13], s[10:11]
	v_lshlrev_b64_e32 v[1:2], 3, v[1:2]
	s_load_b64 s[10:11], s[10:11], 0x0
	s_wait_kmcnt 0x0
	v_mul_lo_u32 v6, s11, v44
	v_mul_lo_u32 v7, s10, v45
	v_mad_co_u64_u32 v[4:5], null, s10, v44, 0
	s_delay_alu instid0(VALU_DEP_1) | instskip(SKIP_1) | instid1(VALU_DEP_2)
	v_add3_u32 v5, v5, v7, v6
	v_mul_u32_u24_e32 v6, 0x88, v3
	v_lshlrev_b64_e32 v[3:4], 3, v[4:5]
	s_delay_alu instid0(VALU_DEP_2) | instskip(NEXT) | instid1(VALU_DEP_1)
	v_sub_nc_u32_e32 v42, v0, v6
	v_lshlrev_b32_e32 v28, 3, v42
	s_delay_alu instid0(VALU_DEP_3) | instskip(SKIP_1) | instid1(VALU_DEP_4)
	v_add_co_u32 v0, s0, s4, v3
	s_wait_alu 0xf1ff
	v_add_co_ci_u32_e64 v3, s0, s5, v4, s0
	s_mov_b32 s4, exec_lo
	s_delay_alu instid0(VALU_DEP_2) | instskip(SKIP_1) | instid1(VALU_DEP_2)
	v_add_co_u32 v0, s0, v0, v1
	s_wait_alu 0xf1ff
	v_add_co_ci_u32_e64 v1, s0, v3, v2, s0
	s_delay_alu instid0(VALU_DEP_2) | instskip(SKIP_1) | instid1(VALU_DEP_2)
	v_add_co_u32 v2, s0, v0, v28
	s_wait_alu 0xf1ff
	v_add_co_ci_u32_e64 v3, s0, 0, v1, s0
	s_clause 0xc
	global_load_b64 v[4:5], v[2:3], off
	global_load_b64 v[6:7], v[2:3], off offset:1088
	global_load_b64 v[8:9], v[2:3], off offset:2176
	;; [unrolled: 1-line block ×12, first 2 shown]
	v_add_nc_u32_e32 v28, 0, v28
	s_delay_alu instid0(VALU_DEP_1)
	v_add_nc_u32_e32 v29, 0x800, v28
	v_add_nc_u32_e32 v30, 0x1000, v28
	;; [unrolled: 1-line block ×5, first 2 shown]
	s_wait_loadcnt 0xb
	ds_store_2addr_b64 v28, v[4:5], v[6:7] offset1:136
	s_wait_loadcnt 0x9
	ds_store_2addr_b64 v29, v[8:9], v[10:11] offset0:16 offset1:152
	s_wait_loadcnt 0x7
	ds_store_2addr_b64 v30, v[12:13], v[14:15] offset0:32 offset1:168
	;; [unrolled: 2-line block ×5, first 2 shown]
	s_wait_loadcnt 0x0
	ds_store_b64 v28, v[2:3] offset:13056
	v_cmpx_eq_u32_e32 0x87, v42
	s_cbranch_execz .LBB0_14
; %bb.13:
	global_load_b64 v[0:1], v[0:1], off offset:14144
	v_mov_b32_e32 v2, 0
	v_mov_b32_e32 v42, 0x87
	s_wait_loadcnt 0x0
	ds_store_b64 v2, v[0:1] offset:14144
.LBB0_14:
	s_wait_alu 0xfffe
	s_or_b32 exec_lo, exec_lo, s4
.LBB0_15:
	s_delay_alu instid0(SALU_CYCLE_1)
	s_or_b32 exec_lo, exec_lo, s1
	v_lshlrev_b32_e32 v0, 3, v42
	global_wb scope:SCOPE_SE
	s_wait_dscnt 0x0
	s_wait_kmcnt 0x0
	s_barrier_signal -1
	s_barrier_wait -1
	global_inv scope:SCOPE_SE
	v_add_nc_u32_e32 v58, 0, v0
	v_sub_nc_u32_e32 v4, 0, v0
	s_mov_b32 s1, exec_lo
                                        ; implicit-def: $vgpr0_vgpr1
	ds_load_b32 v5, v58
	ds_load_b32 v6, v4 offset:14144
	s_wait_dscnt 0x0
	v_dual_sub_f32 v3, v5, v6 :: v_dual_add_f32 v2, v6, v5
	v_cmpx_ne_u32_e32 0, v42
	s_wait_alu 0xfffe
	s_xor_b32 s1, exec_lo, s1
	s_cbranch_execz .LBB0_17
; %bb.16:
	v_dual_mov_b32 v43, 0 :: v_dual_sub_f32 v8, v5, v6
	s_delay_alu instid0(VALU_DEP_1) | instskip(NEXT) | instid1(VALU_DEP_1)
	v_lshlrev_b64_e32 v[0:1], 3, v[42:43]
	v_add_co_u32 v0, s0, s8, v0
	s_wait_alu 0xf1ff
	s_delay_alu instid0(VALU_DEP_2)
	v_add_co_ci_u32_e64 v1, s0, s9, v1, s0
	global_load_b64 v[0:1], v[0:1], off offset:14008
	ds_load_b32 v2, v4 offset:14148
	ds_load_b32 v3, v58 offset:4
	v_add_f32_e32 v7, v6, v5
	s_wait_dscnt 0x0
	v_dual_add_f32 v9, v2, v3 :: v_dual_sub_f32 v2, v3, v2
	s_wait_loadcnt 0x0
	s_delay_alu instid0(VALU_DEP_1) | instskip(SKIP_2) | instid1(VALU_DEP_3)
	v_fma_f32 v6, v9, v1, -v2
	v_fma_f32 v5, -v8, v1, v7
	v_fma_f32 v10, v8, v1, v7
	v_fmac_f32_e32 v6, v8, v0
	v_fma_f32 v3, v9, v1, v2
	s_delay_alu instid0(VALU_DEP_4) | instskip(NEXT) | instid1(VALU_DEP_4)
	v_fmac_f32_e32 v5, v0, v9
	v_fma_f32 v2, -v0, v9, v10
	s_delay_alu instid0(VALU_DEP_3)
	v_dual_fmac_f32 v3, v8, v0 :: v_dual_mov_b32 v0, v42
	v_mov_b32_e32 v1, v43
	ds_store_b64 v4, v[5:6] offset:14144
.LBB0_17:
	s_wait_alu 0xfffe
	s_and_not1_saveexec_b32 s0, s1
	s_cbranch_execz .LBB0_19
; %bb.18:
	v_mov_b32_e32 v7, 0
	ds_load_b64 v[0:1], v7 offset:7072
	s_wait_dscnt 0x0
	v_dual_mul_f32 v6, -2.0, v1 :: v_dual_add_f32 v5, v0, v0
	v_mov_b32_e32 v0, 0
	v_mov_b32_e32 v1, 0
	ds_store_b64 v7, v[5:6] offset:7072
.LBB0_19:
	s_wait_alu 0xfffe
	s_or_b32 exec_lo, exec_lo, s0
	v_lshlrev_b64_e32 v[0:1], 3, v[0:1]
	s_add_nc_u64 s[0:1], s[8:9], 0x36b8
	s_wait_alu 0xfffe
	s_delay_alu instid0(VALU_DEP_1) | instskip(SKIP_1) | instid1(VALU_DEP_2)
	v_add_co_u32 v0, s0, s0, v0
	s_wait_alu 0xf1ff
	v_add_co_ci_u32_e64 v1, s0, s1, v1, s0
	s_mov_b32 s1, exec_lo
	s_clause 0x4
	global_load_b64 v[5:6], v[0:1], off offset:1088
	global_load_b64 v[7:8], v[0:1], off offset:2176
	;; [unrolled: 1-line block ×5, first 2 shown]
	ds_store_b64 v58, v[2:3]
	ds_load_b64 v[2:3], v58 offset:1088
	ds_load_b64 v[15:16], v4 offset:13056
	s_wait_dscnt 0x0
	v_add_f32_e32 v17, v2, v15
	v_sub_f32_e32 v19, v2, v15
	v_add_f32_e32 v18, v16, v3
	v_sub_f32_e32 v2, v3, v16
	s_wait_loadcnt 0x4
	s_delay_alu instid0(VALU_DEP_1) | instskip(SKIP_2) | instid1(VALU_DEP_3)
	v_fma_f32 v3, v18, v6, v2
	v_fma_f32 v20, v19, v6, v17
	v_fma_f32 v15, -v19, v6, v17
	v_fmac_f32_e32 v3, v19, v5
	v_fma_f32 v16, v18, v6, -v2
	s_delay_alu instid0(VALU_DEP_4) | instskip(NEXT) | instid1(VALU_DEP_2)
	v_fma_f32 v2, -v5, v18, v20
	v_dual_fmac_f32 v15, v5, v18 :: v_dual_fmac_f32 v16, v19, v5
	ds_store_b64 v58, v[2:3] offset:1088
	ds_store_b64 v4, v[15:16] offset:13056
	ds_load_b64 v[2:3], v58 offset:2176
	ds_load_b64 v[5:6], v4 offset:11968
	s_wait_dscnt 0x0
	v_add_f32_e32 v16, v6, v3
	v_sub_f32_e32 v17, v2, v5
	v_dual_add_f32 v15, v2, v5 :: v_dual_sub_f32 v2, v3, v6
	s_wait_loadcnt 0x3
	s_delay_alu instid0(VALU_DEP_1) | instskip(SKIP_1) | instid1(VALU_DEP_2)
	v_fma_f32 v6, v16, v8, -v2
	v_fma_f32 v3, v16, v8, v2
	v_fmac_f32_e32 v6, v17, v7
	v_fma_f32 v18, v17, v8, v15
	v_fma_f32 v5, -v17, v8, v15
	s_delay_alu instid0(VALU_DEP_4) | instskip(NEXT) | instid1(VALU_DEP_3)
	v_fmac_f32_e32 v3, v17, v7
	v_fma_f32 v2, -v7, v16, v18
	s_delay_alu instid0(VALU_DEP_3)
	v_fmac_f32_e32 v5, v7, v16
	ds_store_b64 v58, v[2:3] offset:2176
	ds_store_b64 v4, v[5:6] offset:11968
	ds_load_b64 v[2:3], v58 offset:3264
	ds_load_b64 v[5:6], v4 offset:10880
	s_wait_dscnt 0x0
	v_add_f32_e32 v8, v6, v3
	v_add_f32_e32 v7, v2, v5
	v_dual_sub_f32 v15, v2, v5 :: v_dual_sub_f32 v2, v3, v6
	s_wait_loadcnt 0x2
	s_delay_alu instid0(VALU_DEP_1) | instskip(NEXT) | instid1(VALU_DEP_2)
	v_fma_f32 v16, v15, v10, v7
	v_fma_f32 v3, v8, v10, v2
	v_fma_f32 v5, -v15, v10, v7
	v_fma_f32 v6, v8, v10, -v2
	s_delay_alu instid0(VALU_DEP_4) | instskip(NEXT) | instid1(VALU_DEP_4)
	v_fma_f32 v2, -v9, v8, v16
	v_fmac_f32_e32 v3, v15, v9
	s_delay_alu instid0(VALU_DEP_3)
	v_dual_fmac_f32 v5, v9, v8 :: v_dual_fmac_f32 v6, v15, v9
	ds_store_b64 v58, v[2:3] offset:3264
	ds_store_b64 v4, v[5:6] offset:10880
	ds_load_b64 v[2:3], v58 offset:4352
	ds_load_b64 v[5:6], v4 offset:9792
	s_wait_dscnt 0x0
	v_add_f32_e32 v8, v6, v3
	v_add_f32_e32 v7, v2, v5
	v_dual_sub_f32 v9, v2, v5 :: v_dual_sub_f32 v2, v3, v6
	s_wait_loadcnt 0x1
	s_delay_alu instid0(VALU_DEP_1) | instskip(NEXT) | instid1(VALU_DEP_2)
	v_fma_f32 v10, v9, v12, v7
	v_fma_f32 v3, v8, v12, v2
	v_fma_f32 v5, -v9, v12, v7
	v_fma_f32 v6, v8, v12, -v2
	s_delay_alu instid0(VALU_DEP_4) | instskip(NEXT) | instid1(VALU_DEP_4)
	v_fma_f32 v2, -v11, v8, v10
	v_fmac_f32_e32 v3, v9, v11
	s_delay_alu instid0(VALU_DEP_3)
	v_dual_fmac_f32 v5, v11, v8 :: v_dual_fmac_f32 v6, v9, v11
	ds_store_b64 v58, v[2:3] offset:4352
	ds_store_b64 v4, v[5:6] offset:9792
	ds_load_b64 v[2:3], v58 offset:5440
	ds_load_b64 v[5:6], v4 offset:8704
	s_wait_dscnt 0x0
	v_add_f32_e32 v8, v6, v3
	v_add_f32_e32 v7, v2, v5
	v_dual_sub_f32 v9, v2, v5 :: v_dual_sub_f32 v2, v3, v6
	s_wait_loadcnt 0x0
	s_delay_alu instid0(VALU_DEP_1) | instskip(NEXT) | instid1(VALU_DEP_2)
	v_fma_f32 v10, v9, v14, v7
	v_fma_f32 v3, v8, v14, v2
	v_fma_f32 v5, -v9, v14, v7
	v_fma_f32 v6, v8, v14, -v2
	s_delay_alu instid0(VALU_DEP_4) | instskip(NEXT) | instid1(VALU_DEP_4)
	v_fma_f32 v2, -v13, v8, v10
	v_fmac_f32_e32 v3, v9, v13
	s_delay_alu instid0(VALU_DEP_4) | instskip(NEXT) | instid1(VALU_DEP_4)
	v_fmac_f32_e32 v5, v13, v8
	v_fmac_f32_e32 v6, v9, v13
	ds_store_b64 v58, v[2:3] offset:5440
	ds_store_b64 v4, v[5:6] offset:8704
	v_cmpx_gt_u32_e32 0x44, v42
	s_cbranch_execz .LBB0_21
; %bb.20:
	global_load_b64 v[0:1], v[0:1], off offset:6528
	ds_load_b64 v[2:3], v58 offset:6528
	ds_load_b64 v[5:6], v4 offset:7616
	s_wait_dscnt 0x0
	v_dual_add_f32 v8, v6, v3 :: v_dual_sub_f32 v3, v3, v6
	v_sub_f32_e32 v9, v2, v5
	v_add_f32_e32 v7, v2, v5
	s_wait_loadcnt 0x0
	s_delay_alu instid0(VALU_DEP_3) | instskip(SKIP_1) | instid1(VALU_DEP_2)
	v_fma_f32 v2, v8, v1, v3
	v_fma_f32 v6, v8, v1, -v3
	v_fmac_f32_e32 v2, v9, v0
	v_fma_f32 v10, v9, v1, v7
	v_fma_f32 v5, -v9, v1, v7
	s_delay_alu instid0(VALU_DEP_4) | instskip(NEXT) | instid1(VALU_DEP_3)
	v_fmac_f32_e32 v6, v9, v0
	v_fma_f32 v1, -v0, v8, v10
	s_delay_alu instid0(VALU_DEP_3)
	v_fmac_f32_e32 v5, v0, v8
	ds_store_b64 v58, v[1:2] offset:6528
	ds_store_b64 v4, v[5:6] offset:7616
.LBB0_21:
	s_wait_alu 0xfffe
	s_or_b32 exec_lo, exec_lo, s1
	global_wb scope:SCOPE_SE
	s_wait_dscnt 0x0
	s_barrier_signal -1
	s_barrier_wait -1
	global_inv scope:SCOPE_SE
	global_wb scope:SCOPE_SE
	s_barrier_signal -1
	s_barrier_wait -1
	global_inv scope:SCOPE_SE
	ds_load_2addr_b64 v[8:11], v58 offset1:104
	ds_load_b64 v[4:5], v58 offset:13312
	v_add_nc_u32_e32 v0, 0x400, v58
	v_add_nc_u32_e32 v1, 0x2c00, v58
	;; [unrolled: 1-line block ×3, first 2 shown]
	s_mov_b32 s1, exec_lo
	s_wait_dscnt 0x0
	v_dual_sub_f32 v64, v10, v4 :: v_dual_sub_f32 v73, v11, v5
	v_add_f32_e32 v78, v5, v11
	ds_load_2addr_b64 v[36:39], v0 offset0:80 offset1:184
	ds_load_2addr_b64 v[12:15], v1 offset0:48 offset1:152
	v_add_nc_u32_e32 v0, 0xc00, v58
	v_dual_add_f32 v61, v4, v10 :: v_dual_mul_f32 v84, 0xbf2c7751, v73
	v_add_nc_u32_e32 v60, 0x1800, v58
	v_add_nc_u32_e32 v43, 0x2000, v58
	s_wait_dscnt 0x0
	v_dual_mul_f32 v89, 0x3f3d2fb0, v78 :: v_dual_add_f32 v86, v13, v39
	v_sub_f32_e32 v75, v37, v15
	ds_load_2addr_b64 v[32:35], v0 offset0:32 offset1:136
	v_fma_f32 v0, 0x3f3d2fb0, v61, -v84
	v_add_nc_u32_e32 v1, 0x2400, v58
	v_add_f32_e32 v81, v15, v37
	ds_load_2addr_b64 v[28:31], v59 offset0:112 offset1:216
	ds_load_2addr_b64 v[24:27], v60 offset0:64 offset1:168
	v_add_f32_e32 v62, v14, v36
	v_add_f32_e32 v0, v8, v0
	ds_load_2addr_b64 v[16:19], v1 offset0:96 offset1:200
	ds_load_2addr_b64 v[20:23], v43 offset0:16 offset1:120
	v_mul_f32_e32 v87, 0xbf7ee86f, v75
	v_sub_f32_e32 v77, v39, v13
	v_dual_sub_f32 v63, v36, v14 :: v_dual_sub_f32 v66, v38, v12
	v_mul_f32_e32 v93, 0x3dbcf732, v81
	v_mul_f32_e32 v115, 0xbf4c4adb, v75
	global_wb scope:SCOPE_SE
	s_wait_dscnt 0x0
	s_barrier_signal -1
	v_mul_f32_e32 v98, 0xbf1a4643, v86
	s_barrier_wait -1
	v_fma_f32 v7, 0xbf1a4643, v62, -v115
	global_inv scope:SCOPE_SE
	v_mul_f32_e32 v120, 0xbf7ba420, v86
	v_add_f32_e32 v82, v26, v24
	v_dual_sub_f32 v76, v33, v19 :: v_dual_add_f32 v65, v12, v38
	v_add_f32_e32 v90, v19, v33
	v_fma_f32 v2, 0x3dbcf732, v62, -v87
	v_fmamk_f32 v1, v64, 0xbf2c7751, v89
	v_dual_sub_f32 v68, v32, v18 :: v_dual_mul_f32 v91, 0xbf4c4adb, v77
	v_dual_add_f32 v67, v18, v32 :: v_dual_sub_f32 v72, v28, v22
	s_delay_alu instid0(VALU_DEP_3) | instskip(SKIP_1) | instid1(VALU_DEP_4)
	v_dual_add_f32 v0, v2, v0 :: v_dual_add_f32 v1, v9, v1
	v_mul_f32_e32 v94, 0xbe3c28d5, v76
	v_fma_f32 v2, 0xbf1a4643, v65, -v91
	v_fmamk_f32 v3, v63, 0xbf7ee86f, v93
	v_dual_sub_f32 v79, v35, v17 :: v_dual_add_f32 v92, v21, v31
	v_dual_mul_f32 v101, 0xbf7ba420, v90 :: v_dual_sub_f32 v70, v34, v16
	s_delay_alu instid0(VALU_DEP_3) | instskip(NEXT) | instid1(VALU_DEP_3)
	v_dual_add_f32 v0, v2, v0 :: v_dual_add_f32 v1, v3, v1
	v_mul_f32_e32 v100, 0x3f06c442, v79
	v_dual_fmamk_f32 v3, v66, 0xbf4c4adb, v98 :: v_dual_add_f32 v96, v23, v29
	v_fma_f32 v2, 0xbf7ba420, v67, -v94
	v_add_f32_e32 v69, v16, v34
	v_dual_sub_f32 v85, v29, v23 :: v_dual_sub_f32 v80, v30, v20
	s_delay_alu instid0(VALU_DEP_3) | instskip(NEXT) | instid1(VALU_DEP_3)
	v_dual_add_f32 v95, v17, v35 :: v_dual_add_f32 v0, v2, v0
	v_fma_f32 v2, 0xbf59a7d5, v69, -v100
	s_delay_alu instid0(VALU_DEP_3)
	v_mul_f32_e32 v102, 0x3f763a35, v85
	v_add_f32_e32 v1, v3, v1
	v_dual_fmamk_f32 v3, v68, 0xbe3c28d5, v101 :: v_dual_sub_f32 v88, v31, v21
	v_dual_mul_f32 v103, 0xbf59a7d5, v95 :: v_dual_add_f32 v74, v20, v30
	v_mul_f32_e32 v107, 0x3ee437d1, v92
	v_add_f32_e32 v71, v22, v28
	v_mul_f32_e32 v105, 0xbe8c1d8e, v96
	v_add_f32_e32 v0, v2, v0
	v_mul_f32_e32 v104, 0x3f65296c, v88
	v_fmamk_f32 v6, v80, 0x3f65296c, v107
	v_fma_f32 v2, 0xbe8c1d8e, v71, -v102
	v_add_f32_e32 v1, v3, v1
	v_fmamk_f32 v3, v70, 0x3f06c442, v103
	v_dual_sub_f32 v97, v25, v27 :: v_dual_mul_f32 v112, 0x3e3c28d5, v77
	s_delay_alu instid0(VALU_DEP_4) | instskip(SKIP_1) | instid1(VALU_DEP_4)
	v_add_f32_e32 v0, v2, v0
	v_fma_f32 v2, 0x3ee437d1, v74, -v104
	v_add_f32_e32 v1, v3, v1
	v_dual_fmamk_f32 v3, v72, 0x3f763a35, v105 :: v_dual_mul_f32 v110, 0x3f763a35, v76
	s_delay_alu instid0(VALU_DEP_3) | instskip(SKIP_1) | instid1(VALU_DEP_3)
	v_dual_mul_f32 v111, 0xbf65296c, v73 :: v_dual_add_f32 v0, v2, v0
	v_dual_add_f32 v99, v27, v25 :: v_dual_mul_f32 v114, 0x3f2c7751, v79
	v_add_f32_e32 v1, v3, v1
	s_delay_alu instid0(VALU_DEP_3) | instskip(SKIP_1) | instid1(VALU_DEP_4)
	v_fma_f32 v3, 0x3ee437d1, v61, -v111
	v_mul_f32_e32 v106, 0x3eb8f4ab, v97
	v_dual_mul_f32 v108, 0x3f6eb680, v99 :: v_dual_sub_f32 v83, v24, v26
	s_delay_alu instid0(VALU_DEP_3) | instskip(NEXT) | instid1(VALU_DEP_3)
	v_dual_mul_f32 v116, 0xbeb8f4ab, v85 :: v_dual_add_f32 v3, v8, v3
	v_fma_f32 v46, 0x3f6eb680, v82, -v106
	v_mul_f32_e32 v119, 0x3ee437d1, v78
	v_dual_add_f32 v1, v6, v1 :: v_dual_mul_f32 v122, 0x3f6eb680, v96
	s_delay_alu instid0(VALU_DEP_4) | instskip(SKIP_1) | instid1(VALU_DEP_4)
	v_add_f32_e32 v3, v7, v3
	v_fma_f32 v7, 0xbf7ba420, v65, -v112
	v_fmamk_f32 v6, v64, 0xbf65296c, v119
	v_mul_f32_e32 v130, 0x3f763a35, v77
	v_mul_f32_e32 v133, 0x3ee437d1, v95
	;; [unrolled: 1-line block ×3, first 2 shown]
	v_add_f32_e32 v2, v7, v3
	v_fma_f32 v3, 0xbe8c1d8e, v67, -v110
	v_dual_add_f32 v6, v9, v6 :: v_dual_mul_f32 v121, 0xbf1a4643, v81
	v_mul_f32_e32 v136, 0xbf1a4643, v92
	s_delay_alu instid0(VALU_DEP_3) | instskip(SKIP_1) | instid1(VALU_DEP_4)
	v_dual_mul_f32 v137, 0x3f3d2fb0, v99 :: v_dual_add_f32 v2, v3, v2
	v_fma_f32 v3, 0x3f3d2fb0, v69, -v114
	v_fmamk_f32 v7, v63, 0xbf4c4adb, v121
	s_delay_alu instid0(VALU_DEP_3) | instskip(NEXT) | instid1(VALU_DEP_3)
	v_fmamk_f32 v52, v83, 0x3f2c7751, v137
	v_add_f32_e32 v2, v3, v2
	v_fma_f32 v3, 0x3f6eb680, v71, -v116
	s_delay_alu instid0(VALU_DEP_4) | instskip(NEXT) | instid1(VALU_DEP_1)
	v_dual_add_f32 v6, v7, v6 :: v_dual_fmamk_f32 v7, v66, 0x3e3c28d5, v120
	v_dual_mul_f32 v109, 0xbf7ee86f, v88 :: v_dual_add_f32 v6, v7, v6
	v_mul_f32_e32 v117, 0x3f3d2fb0, v95
	s_delay_alu instid0(VALU_DEP_4) | instskip(NEXT) | instid1(VALU_DEP_3)
	v_add_f32_e32 v3, v3, v2
	v_fma_f32 v48, 0x3dbcf732, v74, -v109
	v_mul_f32_e32 v118, 0xbe8c1d8e, v90
	s_delay_alu instid0(VALU_DEP_1) | instskip(NEXT) | instid1(VALU_DEP_1)
	v_dual_add_f32 v2, v46, v0 :: v_dual_fmamk_f32 v7, v68, 0x3f763a35, v118
	v_add_f32_e32 v0, v7, v6
	s_delay_alu instid0(VALU_DEP_4) | instskip(SKIP_1) | instid1(VALU_DEP_2)
	v_dual_fmamk_f32 v6, v70, 0x3f2c7751, v117 :: v_dual_add_f32 v7, v48, v3
	v_fmamk_f32 v48, v72, 0xbeb8f4ab, v122
	v_dual_add_f32 v0, v6, v0 :: v_dual_fmamk_f32 v47, v83, 0x3eb8f4ab, v108
	s_delay_alu instid0(VALU_DEP_1) | instskip(SKIP_2) | instid1(VALU_DEP_3)
	v_dual_add_f32 v0, v48, v0 :: v_dual_mul_f32 v135, 0x3dbcf732, v78
	v_mul_f32_e32 v125, 0xbf7ee86f, v73
	v_fma_f32 v48, 0xbe8c1d8e, v65, -v130
	v_fmamk_f32 v6, v64, 0xbf7ee86f, v135
	s_delay_alu instid0(VALU_DEP_3) | instskip(NEXT) | instid1(VALU_DEP_1)
	v_fma_f32 v3, 0x3dbcf732, v61, -v125
	v_dual_add_f32 v6, v9, v6 :: v_dual_add_f32 v3, v8, v3
	v_mul_f32_e32 v138, 0xbf7ba420, v81
	s_delay_alu instid0(VALU_DEP_1) | instskip(NEXT) | instid1(VALU_DEP_1)
	v_dual_mul_f32 v129, 0xbe3c28d5, v75 :: v_dual_fmamk_f32 v50, v63, 0xbe3c28d5, v138
	v_fma_f32 v49, 0xbf7ba420, v62, -v129
	s_delay_alu instid0(VALU_DEP_2) | instskip(NEXT) | instid1(VALU_DEP_2)
	v_dual_mul_f32 v113, 0xbf06c442, v97 :: v_dual_add_f32 v6, v50, v6
	v_dual_add_f32 v3, v49, v3 :: v_dual_mul_f32 v132, 0x3eb8f4ab, v76
	v_mul_f32_e32 v123, 0x3dbcf732, v92
	s_delay_alu instid0(VALU_DEP_3) | instskip(NEXT) | instid1(VALU_DEP_3)
	v_fma_f32 v46, 0xbf59a7d5, v82, -v113
	v_add_f32_e32 v3, v48, v3
	s_delay_alu instid0(VALU_DEP_4) | instskip(SKIP_2) | instid1(VALU_DEP_3)
	v_fma_f32 v48, 0x3f6eb680, v67, -v132
	v_mul_f32_e32 v140, 0x3f6eb680, v90
	v_fmamk_f32 v50, v80, 0xbf7ee86f, v123
	v_add_f32_e32 v3, v48, v3
	v_fma_f32 v48, 0x3ee437d1, v69, -v126
	s_delay_alu instid0(VALU_DEP_3) | instskip(NEXT) | instid1(VALU_DEP_1)
	v_dual_mul_f32 v139, 0xbe8c1d8e, v86 :: v_dual_add_f32 v50, v50, v0
	v_dual_add_f32 v0, v48, v3 :: v_dual_fmamk_f32 v49, v66, 0x3f763a35, v139
	s_delay_alu instid0(VALU_DEP_1) | instskip(NEXT) | instid1(VALU_DEP_1)
	v_dual_add_f32 v6, v49, v6 :: v_dual_fmamk_f32 v49, v68, 0x3eb8f4ab, v140
	v_dual_add_f32 v6, v49, v6 :: v_dual_fmamk_f32 v49, v70, 0xbf65296c, v133
	s_delay_alu instid0(VALU_DEP_1) | instskip(NEXT) | instid1(VALU_DEP_1)
	v_dual_add_f32 v3, v49, v6 :: v_dual_mul_f32 v134, 0xbf59a7d5, v96
	v_dual_mul_f32 v127, 0xbf06c442, v85 :: v_dual_fmamk_f32 v48, v72, 0xbf06c442, v134
	s_delay_alu instid0(VALU_DEP_1) | instskip(NEXT) | instid1(VALU_DEP_2)
	v_fma_f32 v6, 0xbf59a7d5, v71, -v127
	v_add_f32_e32 v3, v48, v3
	v_fmamk_f32 v48, v80, 0x3f4c4adb, v136
	s_delay_alu instid0(VALU_DEP_3) | instskip(NEXT) | instid1(VALU_DEP_2)
	v_add_f32_e32 v0, v6, v0
	v_add_f32_e32 v48, v48, v3
	v_dual_mul_f32 v124, 0xbf59a7d5, v99 :: v_dual_add_f32 v3, v47, v1
	s_delay_alu instid0(VALU_DEP_1) | instskip(NEXT) | instid1(VALU_DEP_1)
	v_fmamk_f32 v49, v83, 0xbf06c442, v124
	v_dual_mul_f32 v128, 0x3f4c4adb, v88 :: v_dual_add_f32 v1, v49, v50
	s_delay_alu instid0(VALU_DEP_1) | instskip(NEXT) | instid1(VALU_DEP_1)
	v_fma_f32 v6, 0xbf1a4643, v74, -v128
	v_dual_mul_f32 v131, 0x3f2c7751, v97 :: v_dual_add_f32 v6, v6, v0
	s_delay_alu instid0(VALU_DEP_1) | instskip(SKIP_1) | instid1(VALU_DEP_2)
	v_fma_f32 v51, 0x3f3d2fb0, v82, -v131
	v_dual_add_f32 v0, v46, v7 :: v_dual_add_f32 v7, v52, v48
	v_add_f32_e32 v6, v51, v6
	v_cmpx_gt_u32_e32 0x68, v42
	s_cbranch_execz .LBB0_23
; %bb.22:
	v_mul_f32_e32 v155, 0xbf763a35, v64
	v_mul_f32_e32 v141, 0x3f2c7751, v66
	;; [unrolled: 1-line block ×3, first 2 shown]
	v_dual_mul_f32 v142, 0xbe3c28d5, v79 :: v_dual_mul_f32 v167, 0xbe3c28d5, v80
	s_delay_alu instid0(VALU_DEP_4) | instskip(NEXT) | instid1(VALU_DEP_4)
	v_fmamk_f32 v46, v78, 0xbe8c1d8e, v155
	v_fmamk_f32 v50, v86, 0x3f3d2fb0, v141
	s_delay_alu instid0(VALU_DEP_4) | instskip(SKIP_1) | instid1(VALU_DEP_4)
	v_fma_f32 v49, 0xbf59a7d5, v62, -v150
	v_dual_mul_f32 v156, 0x3f7ee86f, v72 :: v_dual_mul_f32 v143, 0x3f7ee86f, v85
	v_dual_add_f32 v46, v9, v46 :: v_dual_mul_f32 v153, 0x3f06c442, v63
	v_mul_f32_e32 v145, 0xbeb8f4ab, v88
	v_dual_mul_f32 v154, 0xbeb8f4ab, v80 :: v_dual_mul_f32 v159, 0xbeb8f4ab, v66
	v_dual_mul_f32 v148, 0xbf4c4adb, v83 :: v_dual_mul_f32 v57, 0xbf4c4adb, v73
	s_delay_alu instid0(VALU_DEP_4) | instskip(SKIP_3) | instid1(VALU_DEP_4)
	v_fmamk_f32 v48, v81, 0xbf59a7d5, v153
	v_mul_f32_e32 v56, 0xbf4c4adb, v64
	v_mul_f32_e32 v158, 0x3f763a35, v75
	v_dual_mul_f32 v160, 0xbeb8f4ab, v77 :: v_dual_mul_f32 v179, 0xbeb8f4ab, v79
	v_dual_add_f32 v46, v48, v46 :: v_dual_mul_f32 v151, 0xbf763a35, v73
	s_delay_alu instid0(VALU_DEP_3) | instskip(SKIP_1) | instid1(VALU_DEP_3)
	v_fma_f32 v52, 0xbe8c1d8e, v62, -v158
	v_dual_mul_f32 v163, 0x3f7ee86f, v70 :: v_dual_mul_f32 v164, 0x3f7ee86f, v79
	v_add_f32_e32 v46, v50, v46
	s_delay_alu instid0(VALU_DEP_4) | instskip(SKIP_2) | instid1(VALU_DEP_3)
	v_fma_f32 v47, 0xbe8c1d8e, v61, -v151
	v_mul_f32_e32 v147, 0xbf65296c, v68
	v_dual_mul_f32 v162, 0xbf06c442, v76 :: v_dual_mul_f32 v55, 0xbf06c442, v73
	v_dual_mul_f32 v152, 0xbf4c4adb, v97 :: v_dual_add_f32 v47, v8, v47
	v_mul_f32_e32 v146, 0xbe3c28d5, v70
	v_mul_f32_e32 v166, 0xbf2c7751, v85
	v_dual_mul_f32 v168, 0xbe3c28d5, v88 :: v_dual_mul_f32 v181, 0xbe3c28d5, v85
	s_delay_alu instid0(VALU_DEP_4) | instskip(SKIP_4) | instid1(VALU_DEP_4)
	v_add_f32_e32 v47, v49, v47
	v_fmamk_f32 v49, v90, 0x3ee437d1, v147
	v_dual_mul_f32 v54, 0xbf06c442, v64 :: v_dual_mul_f32 v191, 0xbf06c442, v66
	v_mul_f32_e32 v172, 0x3f65296c, v75
	v_mul_f32_e32 v176, 0x3f4c4adb, v68
	v_dual_add_f32 v46, v49, v46 :: v_dual_mul_f32 v149, 0x3f2c7751, v77
	v_fma_f32 v49, 0xbf7ba420, v69, -v142
	v_mul_f32_e32 v144, 0xbf65296c, v76
	v_mul_f32_e32 v180, 0xbe3c28d5, v72
	v_dual_mul_f32 v170, 0x3f65296c, v97 :: v_dual_mul_f32 v197, 0x3f65296c, v72
	v_fma_f32 v48, 0x3f3d2fb0, v65, -v149
	s_delay_alu instid0(VALU_DEP_4)
	v_fma_f32 v50, 0x3ee437d1, v67, -v144
	v_fma_f32 v174, 0x3ee437d1, v62, -v172
	v_mul_f32_e32 v178, 0xbeb8f4ab, v70
	v_fmamk_f32 v182, v96, 0xbf7ba420, v180
	v_add_f32_e32 v47, v48, v47
	v_mul_f32_e32 v183, 0x3f2c7751, v80
	v_mul_f32_e32 v184, 0x3f2c7751, v88
	;; [unrolled: 1-line block ×3, first 2 shown]
	s_delay_alu instid0(VALU_DEP_4)
	v_dual_mul_f32 v194, 0xbf06c442, v77 :: v_dual_add_f32 v47, v50, v47
	v_fma_f32 v50, 0xbf1a4643, v61, -v57
	v_mul_f32_e32 v192, 0x3f2c7751, v68
	v_fma_f32 v155, 0xbe8c1d8e, v78, -v155
	v_fma_f32 v147, 0x3ee437d1, v90, -v147
	v_add_f32_e32 v47, v49, v47
	v_fma_f32 v49, 0x3dbcf732, v71, -v143
	v_fmamk_f32 v48, v95, 0xbf7ba420, v146
	v_fma_f32 v146, 0xbf7ba420, v95, -v146
	v_fma_f32 v153, 0xbf59a7d5, v81, -v153
	v_fmac_f32_e32 v144, 0x3ee437d1, v67
	s_delay_alu instid0(VALU_DEP_4) | instskip(SKIP_4) | instid1(VALU_DEP_4)
	v_dual_add_f32 v47, v49, v47 :: v_dual_add_f32 v46, v48, v46
	v_fma_f32 v49, 0x3f6eb680, v74, -v145
	v_fmamk_f32 v48, v96, 0x3dbcf732, v156
	v_fmac_f32_e32 v142, 0xbf7ba420, v69
	v_add_f32_e32 v10, v8, v10
	v_dual_add_f32 v50, v8, v50 :: v_dual_add_f32 v49, v49, v47
	s_delay_alu instid0(VALU_DEP_4) | instskip(SKIP_1) | instid1(VALU_DEP_3)
	v_add_f32_e32 v46, v48, v46
	v_fmamk_f32 v48, v92, 0x3f6eb680, v154
	v_dual_mul_f32 v161, 0xbf06c442, v68 :: v_dual_add_f32 v50, v52, v50
	v_fma_f32 v52, 0x3f6eb680, v65, -v160
	v_fmac_f32_e32 v160, 0x3f6eb680, v65
	s_delay_alu instid0(VALU_DEP_4)
	v_add_f32_e32 v46, v48, v46
	v_fmamk_f32 v48, v99, 0xbf1a4643, v148
	v_mul_f32_e32 v165, 0xbf2c7751, v72
	v_mul_f32_e32 v169, 0x3f65296c, v83
	v_fmamk_f32 v53, v92, 0xbf7ba420, v167
	v_mul_f32_e32 v171, 0x3f65296c, v63
	v_dual_add_f32 v47, v48, v46 :: v_dual_fmamk_f32 v46, v78, 0xbf1a4643, v56
	v_mul_f32_e32 v157, 0x3f763a35, v63
	v_fma_f32 v48, 0xbf1a4643, v82, -v152
	v_fmac_f32_e32 v150, 0xbf59a7d5, v62
	v_mul_f32_e32 v173, 0xbf7ee86f, v66
	v_add_f32_e32 v46, v9, v46
	v_fmamk_f32 v51, v81, 0xbe8c1d8e, v157
	v_fma_f32 v157, 0xbe8c1d8e, v81, -v157
	v_mul_f32_e32 v175, 0xbf7ee86f, v77
	v_fmac_f32_e32 v143, 0x3dbcf732, v71
	s_delay_alu instid0(VALU_DEP_4) | instskip(SKIP_3) | instid1(VALU_DEP_4)
	v_dual_mul_f32 v185, 0xbf763a35, v97 :: v_dual_add_f32 v46, v51, v46
	v_fmamk_f32 v51, v86, 0x3f6eb680, v159
	v_mul_f32_e32 v199, 0xbf763a35, v80
	v_mul_f32_e32 v195, 0xbf4c4adb, v70
	v_fma_f32 v187, 0xbe8c1d8e, v82, -v185
	s_delay_alu instid0(VALU_DEP_4) | instskip(SKIP_4) | instid1(VALU_DEP_4)
	v_dual_mul_f32 v201, 0x3f65296c, v85 :: v_dual_add_f32 v46, v51, v46
	v_dual_fmamk_f32 v51, v90, 0xbf59a7d5, v161 :: v_dual_add_f32 v50, v52, v50
	v_fma_f32 v52, 0xbf59a7d5, v67, -v162
	v_fmac_f32_e32 v162, 0xbf59a7d5, v67
	v_fmac_f32_e32 v145, 0x3f6eb680, v74
	v_add_f32_e32 v46, v51, v46
	s_delay_alu instid0(VALU_DEP_4) | instskip(SKIP_2) | instid1(VALU_DEP_3)
	v_dual_fmamk_f32 v51, v95, 0x3dbcf732, v163 :: v_dual_add_f32 v50, v52, v50
	v_fma_f32 v52, 0x3dbcf732, v69, -v164
	v_dual_add_f32 v155, v9, v155 :: v_dual_fmac_f32 v164, 0x3dbcf732, v69
	v_dual_add_f32 v46, v51, v46 :: v_dual_fmamk_f32 v51, v96, 0x3f3d2fb0, v165
	s_delay_alu instid0(VALU_DEP_3) | instskip(SKIP_2) | instid1(VALU_DEP_4)
	v_add_f32_e32 v50, v52, v50
	v_fma_f32 v52, 0x3f3d2fb0, v71, -v166
	v_fmac_f32_e32 v57, 0xbf1a4643, v61
	v_dual_mul_f32 v196, 0x3f2c7751, v76 :: v_dual_add_f32 v51, v51, v46
	v_fma_f32 v56, 0xbf1a4643, v78, -v56
	v_add_f32_e32 v46, v48, v49
	s_delay_alu instid0(VALU_DEP_4) | instskip(NEXT) | instid1(VALU_DEP_4)
	v_add_f32_e32 v57, v8, v57
	v_dual_fmamk_f32 v49, v99, 0x3ee437d1, v169 :: v_dual_add_f32 v48, v53, v51
	s_delay_alu instid0(VALU_DEP_4)
	v_add_f32_e32 v56, v9, v56
	v_add_f32_e32 v50, v52, v50
	v_fma_f32 v52, 0xbf7ba420, v74, -v168
	v_fmamk_f32 v53, v81, 0x3ee437d1, v171
	v_add_f32_e32 v49, v49, v48
	v_add_f32_e32 v56, v157, v56
	v_fma_f32 v157, 0x3f6eb680, v86, -v159
	v_add_f32_e32 v50, v52, v50
	v_fma_f32 v52, 0xbf59a7d5, v61, -v55
	v_fma_f32 v51, 0x3ee437d1, v82, -v170
	v_mul_f32_e32 v177, 0x3f4c4adb, v76
	v_add_f32_e32 v56, v157, v56
	v_fma_f32 v157, 0xbf59a7d5, v90, -v161
	v_dual_add_f32 v52, v8, v52 :: v_dual_fmac_f32 v55, 0xbf59a7d5, v61
	v_fmac_f32_e32 v168, 0xbf7ba420, v74
	s_delay_alu instid0(VALU_DEP_3)
	v_dual_fmac_f32 v151, 0xbe8c1d8e, v61 :: v_dual_add_f32 v56, v157, v56
	v_fma_f32 v157, 0x3dbcf732, v95, -v163
	v_mul_f32_e32 v198, 0xbf4c4adb, v79
	v_add_f32_e32 v55, v8, v55
	v_fma_f32 v171, 0x3ee437d1, v81, -v171
	v_fma_f32 v141, 0x3f3d2fb0, v86, -v141
	v_add_f32_e32 v157, v157, v56
	v_fma_f32 v200, 0xbf1a4643, v69, -v198
	v_fmamk_f32 v48, v78, 0xbf59a7d5, v54
	v_fma_f32 v54, 0xbf59a7d5, v78, -v54
	v_fmac_f32_e32 v152, 0xbf1a4643, v82
	v_fmac_f32_e32 v170, 0x3ee437d1, v82
	s_delay_alu instid0(VALU_DEP_4) | instskip(NEXT) | instid1(VALU_DEP_4)
	v_dual_fmac_f32 v185, 0xbe8c1d8e, v82 :: v_dual_add_f32 v48, v9, v48
	v_dual_add_f32 v54, v9, v54 :: v_dual_add_f32 v151, v8, v151
	v_add_f32_e32 v153, v153, v155
	s_delay_alu instid0(VALU_DEP_3) | instskip(SKIP_4) | instid1(VALU_DEP_4)
	v_dual_fmac_f32 v149, 0x3f3d2fb0, v65 :: v_dual_add_f32 v48, v53, v48
	v_fmamk_f32 v53, v86, 0x3dbcf732, v173
	v_add_f32_e32 v52, v174, v52
	v_fma_f32 v174, 0x3dbcf732, v65, -v175
	v_dual_fmac_f32 v175, 0x3dbcf732, v65 :: v_dual_add_f32 v54, v171, v54
	v_dual_add_f32 v48, v53, v48 :: v_dual_fmamk_f32 v53, v90, 0xbf1a4643, v176
	v_fma_f32 v171, 0x3dbcf732, v86, -v173
	v_dual_add_f32 v141, v141, v153 :: v_dual_add_f32 v150, v150, v151
	v_fmac_f32_e32 v198, 0xbf1a4643, v69
	s_delay_alu instid0(VALU_DEP_4)
	v_dual_add_f32 v48, v53, v48 :: v_dual_fmamk_f32 v53, v95, 0x3f6eb680, v178
	v_add_f32_e32 v52, v174, v52
	v_add_f32_e32 v54, v171, v54
	;; [unrolled: 1-line block ×4, first 2 shown]
	v_dual_add_f32 v53, v53, v48 :: v_dual_add_f32 v48, v51, v50
	v_fma_f32 v174, 0xbf1a4643, v67, -v177
	v_fmac_f32_e32 v177, 0xbf1a4643, v67
	s_delay_alu instid0(VALU_DEP_3) | instskip(NEXT) | instid1(VALU_DEP_3)
	v_dual_mul_f32 v151, 0xbf7ee86f, v64 :: v_dual_add_f32 v50, v182, v53
	v_dual_fmamk_f32 v51, v92, 0x3f3d2fb0, v183 :: v_dual_add_f32 v52, v174, v52
	v_fma_f32 v174, 0x3f6eb680, v69, -v179
	v_fma_f32 v53, 0x3f3d2fb0, v74, -v184
	v_mul_f32_e32 v182, 0xbf763a35, v83
	s_delay_alu instid0(VALU_DEP_4) | instskip(NEXT) | instid1(VALU_DEP_4)
	v_dual_add_f32 v50, v51, v50 :: v_dual_fmac_f32 v179, 0x3f6eb680, v69
	v_add_f32_e32 v52, v174, v52
	v_fma_f32 v174, 0xbf7ba420, v71, -v181
	v_fmac_f32_e32 v181, 0xbf7ba420, v71
	v_fma_f32 v161, 0xbe8c1d8e, v99, -v182
	v_add_f32_e32 v141, v146, v141
	v_fma_f32 v150, 0x3dbcf732, v96, -v156
	v_add_f32_e32 v52, v174, v52
	v_mul_f32_e32 v174, 0xbe3c28d5, v64
	v_dual_add_f32 v144, v144, v149 :: v_dual_mul_f32 v149, 0xbe3c28d5, v63
	s_delay_alu instid0(VALU_DEP_3) | instskip(NEXT) | instid1(VALU_DEP_3)
	v_dual_sub_f32 v135, v135, v151 :: v_dual_add_f32 v52, v53, v52
	v_fmamk_f32 v51, v78, 0xbf7ba420, v174
	v_mul_f32_e32 v53, 0x3eb8f4ab, v63
	v_fma_f32 v174, 0xbf7ba420, v78, -v174
	v_add_f32_e32 v141, v150, v141
	v_fma_f32 v150, 0x3f6eb680, v92, -v154
	v_add_f32_e32 v189, v9, v51
	v_fmamk_f32 v190, v81, 0x3f6eb680, v53
	v_add_f32_e32 v174, v9, v174
	v_fma_f32 v53, 0x3f6eb680, v81, -v53
	v_fmamk_f32 v186, v99, 0xbe8c1d8e, v182
	v_add_f32_e32 v142, v142, v144
	v_dual_add_f32 v189, v190, v189 :: v_dual_fmac_f32 v172, 0x3ee437d1, v62
	s_delay_alu instid0(VALU_DEP_4) | instskip(NEXT) | instid1(VALU_DEP_4)
	v_add_f32_e32 v53, v53, v174
	v_add_f32_e32 v51, v186, v50
	v_fma_f32 v50, 0xbf7ba420, v61, -v188
	v_mul_f32_e32 v186, 0x3eb8f4ab, v75
	v_add_f32_e32 v172, v172, v55
	v_fmac_f32_e32 v188, 0xbf7ba420, v61
	v_fmamk_f32 v190, v86, 0xbf59a7d5, v191
	v_add_f32_e32 v50, v8, v50
	v_fma_f32 v193, 0x3f6eb680, v62, -v186
	v_add_f32_e32 v172, v175, v172
	v_add_f32_e32 v188, v8, v188
	v_dual_fmac_f32 v186, 0x3f6eb680, v62 :: v_dual_add_f32 v189, v190, v189
	s_delay_alu instid0(VALU_DEP_4) | instskip(SKIP_2) | instid1(VALU_DEP_4)
	v_add_f32_e32 v50, v193, v50
	v_fma_f32 v193, 0xbf59a7d5, v65, -v194
	v_add_f32_e32 v172, v177, v172
	v_add_f32_e32 v186, v186, v188
	v_fmac_f32_e32 v158, 0xbe8c1d8e, v62
	v_fma_f32 v174, 0xbf59a7d5, v86, -v191
	v_add_f32_e32 v50, v193, v50
	v_add_f32_e32 v172, v179, v172
	v_fmamk_f32 v190, v90, 0x3f3d2fb0, v192
	v_fma_f32 v193, 0x3f3d2fb0, v67, -v196
	v_add_f32_e32 v158, v158, v57
	s_delay_alu instid0(VALU_DEP_4) | instskip(NEXT) | instid1(VALU_DEP_4)
	v_dual_add_f32 v174, v174, v53 :: v_dual_add_f32 v159, v181, v172
	v_dual_add_f32 v189, v190, v189 :: v_dual_fmamk_f32 v190, v95, 0xbf1a4643, v195
	s_delay_alu instid0(VALU_DEP_4) | instskip(SKIP_1) | instid1(VALU_DEP_3)
	v_dual_add_f32 v193, v193, v50 :: v_dual_add_f32 v50, v187, v52
	v_fmamk_f32 v187, v92, 0xbe8c1d8e, v199
	v_dual_add_f32 v158, v160, v158 :: v_dual_add_f32 v189, v190, v189
	v_fmamk_f32 v190, v96, 0x3ee437d1, v197
	v_fma_f32 v160, 0x3f3d2fb0, v96, -v165
	v_fma_f32 v191, 0x3f3d2fb0, v90, -v192
	s_delay_alu instid0(VALU_DEP_4)
	v_add_f32_e32 v158, v162, v158
	v_fmac_f32_e32 v166, 0x3f3d2fb0, v71
	v_add_f32_e32 v52, v190, v189
	v_add_f32_e32 v189, v200, v193
	v_fma_f32 v190, 0x3ee437d1, v71, -v201
	v_dual_mul_f32 v193, 0xbf763a35, v88 :: v_dual_add_f32 v174, v191, v174
	s_delay_alu instid0(VALU_DEP_4) | instskip(NEXT) | instid1(VALU_DEP_3)
	v_dual_add_f32 v52, v187, v52 :: v_dual_add_f32 v157, v160, v157
	v_add_f32_e32 v187, v190, v189
	s_delay_alu instid0(VALU_DEP_3)
	v_fma_f32 v189, 0xbe8c1d8e, v74, -v193
	v_mul_f32_e32 v190, 0x3f7ee86f, v97
	v_add_f32_e32 v158, v164, v158
	v_fma_f32 v171, 0xbf1a4643, v90, -v176
	v_fmac_f32_e32 v196, 0x3f3d2fb0, v67
	v_add_f32_e32 v187, v189, v187
	v_mul_f32_e32 v189, 0x3f7ee86f, v83
	v_fmac_f32_e32 v184, 0x3f3d2fb0, v74
	v_dual_add_f32 v54, v171, v54 :: v_dual_add_f32 v135, v9, v135
	v_fma_f32 v171, 0x3f6eb680, v95, -v178
	s_delay_alu instid0(VALU_DEP_4)
	v_fmamk_f32 v188, v99, 0x3dbcf732, v189
	v_fma_f32 v55, 0x3dbcf732, v99, -v189
	v_add_f32_e32 v159, v184, v159
	v_fmac_f32_e32 v201, 0x3ee437d1, v71
	v_add_f32_e32 v171, v171, v54
	v_add_f32_e32 v53, v188, v52
	v_fma_f32 v52, 0x3dbcf732, v82, -v190
	v_fma_f32 v188, 0xbf1a4643, v95, -v195
	v_add_f32_e32 v56, v185, v159
	v_fma_f32 v159, 0xbf7ba420, v92, -v167
	s_delay_alu instid0(VALU_DEP_4) | instskip(NEXT) | instid1(VALU_DEP_4)
	v_dual_fmac_f32 v193, 0xbe8c1d8e, v74 :: v_dual_add_f32 v52, v52, v187
	v_add_f32_e32 v174, v188, v174
	v_fma_f32 v187, 0x3ee437d1, v96, -v197
	s_delay_alu instid0(VALU_DEP_4)
	v_add_f32_e32 v157, v159, v157
	v_sub_f32_e32 v138, v138, v149
	v_fmac_f32_e32 v190, 0x3dbcf732, v82
	v_mul_f32_e32 v144, 0x3f763a35, v66
	v_add_f32_e32 v174, v187, v174
	v_fma_f32 v187, 0xbe8c1d8e, v92, -v199
	v_dual_add_f32 v141, v150, v141 :: v_dual_mul_f32 v90, 0x3dbcf732, v90
	v_dual_add_f32 v142, v143, v142 :: v_dual_add_f32 v135, v138, v135
	s_delay_alu instid0(VALU_DEP_3) | instskip(SKIP_3) | instid1(VALU_DEP_4)
	v_add_f32_e32 v173, v187, v174
	v_sub_f32_e32 v138, v139, v144
	v_mul_f32_e32 v139, 0x3eb8f4ab, v68
	v_fma_f32 v143, 0xbf1a4643, v99, -v148
	v_dual_add_f32 v142, v145, v142 :: v_dual_add_f32 v55, v55, v173
	v_fma_f32 v173, 0xbf7ba420, v96, -v180
	v_add_f32_e32 v135, v138, v135
	s_delay_alu instid0(VALU_DEP_4) | instskip(SKIP_1) | instid1(VALU_DEP_4)
	v_dual_sub_f32 v140, v140, v139 :: v_dual_add_f32 v139, v143, v141
	v_mul_f32_e32 v141, 0x3dbcf732, v61
	v_add_f32_e32 v171, v173, v171
	v_fma_f32 v173, 0x3f3d2fb0, v92, -v183
	v_add_f32_e32 v138, v152, v142
	v_dual_mul_f32 v142, 0xbf65296c, v70 :: v_dual_add_f32 v135, v140, v135
	s_delay_alu instid0(VALU_DEP_3) | instskip(SKIP_4) | instid1(VALU_DEP_4)
	v_dual_mul_f32 v140, 0xbf7ba420, v62 :: v_dual_add_f32 v171, v173, v171
	v_fmac_f32_e32 v194, 0xbf59a7d5, v65
	v_add_f32_e32 v125, v141, v125
	v_mul_f32_e32 v141, 0x3f3d2fb0, v61
	v_dual_sub_f32 v133, v133, v142 :: v_dual_mul_f32 v142, 0xbf06c442, v72
	v_dual_add_f32 v186, v194, v186 :: v_dual_add_f32 v129, v140, v129
	s_delay_alu instid0(VALU_DEP_4) | instskip(SKIP_1) | instid1(VALU_DEP_3)
	v_add_f32_e32 v125, v8, v125
	v_add_f32_e32 v57, v161, v171
	v_dual_add_f32 v133, v133, v135 :: v_dual_add_f32 v186, v196, v186
	v_dual_mul_f32 v135, 0xbe8c1d8e, v65 :: v_dual_sub_f32 v134, v134, v142
	s_delay_alu instid0(VALU_DEP_4) | instskip(NEXT) | instid1(VALU_DEP_3)
	v_add_f32_e32 v125, v129, v125
	v_dual_mul_f32 v129, 0x3f4c4adb, v80 :: v_dual_add_f32 v186, v198, v186
	s_delay_alu instid0(VALU_DEP_3) | instskip(NEXT) | instid1(VALU_DEP_2)
	v_dual_add_f32 v130, v135, v130 :: v_dual_add_f32 v133, v134, v133
	v_dual_mul_f32 v134, 0x3f6eb680, v67 :: v_dual_sub_f32 v129, v136, v129
	s_delay_alu instid0(VALU_DEP_2) | instskip(SKIP_1) | instid1(VALU_DEP_3)
	v_dual_add_f32 v186, v201, v186 :: v_dual_add_f32 v125, v130, v125
	v_dual_add_f32 v155, v166, v158 :: v_dual_mul_f32 v130, 0x3f2c7751, v83
	v_add_f32_e32 v132, v134, v132
	s_delay_alu instid0(VALU_DEP_3) | instskip(SKIP_1) | instid1(VALU_DEP_4)
	v_add_f32_e32 v174, v193, v186
	v_add_f32_e32 v129, v129, v133
	;; [unrolled: 1-line block ×3, first 2 shown]
	v_mul_f32_e32 v133, 0xbf1a4643, v62
	v_mul_f32_e32 v142, 0x3ee437d1, v61
	v_add_f32_e32 v54, v190, v174
	v_dual_sub_f32 v130, v137, v130 :: v_dual_mul_f32 v137, 0x3ee437d1, v69
	v_dual_add_f32 v146, v170, v153 :: v_dual_mul_f32 v135, 0xbf65296c, v64
	v_add_f32_e32 v125, v132, v125
	v_dual_add_f32 v115, v133, v115 :: v_dual_mul_f32 v140, 0xbf2c7751, v64
	s_delay_alu instid0(VALU_DEP_4)
	v_dual_add_f32 v111, v142, v111 :: v_dual_add_f32 v126, v137, v126
	v_mul_f32_e32 v137, 0xbf59a7d5, v71
	v_mul_f32_e32 v136, 0x3dbcf732, v62
	;; [unrolled: 1-line block ×3, first 2 shown]
	v_sub_f32_e32 v119, v119, v135
	v_add_f32_e32 v125, v126, v125
	v_add_f32_e32 v127, v137, v127
	;; [unrolled: 1-line block ×3, first 2 shown]
	v_dual_mul_f32 v134, 0xbf7ee86f, v63 :: v_dual_sub_f32 v121, v121, v132
	v_dual_mul_f32 v132, 0xbf4c4adb, v66 :: v_dual_add_f32 v119, v9, v119
	s_delay_alu instid0(VALU_DEP_3)
	v_add_f32_e32 v111, v115, v111
	v_add_f32_e32 v125, v127, v125
	v_mul_f32_e32 v127, 0x3f763a35, v68
	v_mul_f32_e32 v115, 0xbf7ee86f, v80
	v_dual_mul_f32 v126, 0x3e3c28d5, v66 :: v_dual_add_f32 v119, v121, v119
	v_mul_f32_e32 v133, 0xbe8c1d8e, v71
	s_delay_alu instid0(VALU_DEP_4) | instskip(SKIP_1) | instid1(VALU_DEP_4)
	v_sub_f32_e32 v118, v118, v127
	v_mul_f32_e32 v127, 0xbe8c1d8e, v67
	v_dual_sub_f32 v115, v123, v115 :: v_dual_sub_f32 v120, v120, v126
	v_dual_mul_f32 v137, 0xbf7ba420, v65 :: v_dual_sub_f32 v140, v89, v140
	s_delay_alu instid0(VALU_DEP_3) | instskip(NEXT) | instid1(VALU_DEP_3)
	v_dual_add_f32 v110, v127, v110 :: v_dual_mul_f32 v127, 0x3eb8f4ab, v83
	v_dual_add_f32 v119, v120, v119 :: v_dual_mul_f32 v120, 0x3f3d2fb0, v82
	s_delay_alu instid0(VALU_DEP_3) | instskip(NEXT) | instid1(VALU_DEP_2)
	v_dual_add_f32 v89, v130, v129 :: v_dual_add_f32 v112, v137, v112
	v_dual_mul_f32 v137, 0x3ee437d1, v74 :: v_dual_add_f32 v118, v118, v119
	s_delay_alu instid0(VALU_DEP_3)
	v_dual_mul_f32 v143, 0xbf59a7d5, v82 :: v_dual_add_f32 v120, v120, v131
	v_mul_f32_e32 v123, 0x3dbcf732, v74
	v_mul_f32_e32 v131, 0x3f2c7751, v70
	;; [unrolled: 1-line block ×3, first 2 shown]
	v_dual_mul_f32 v126, 0xbf7ba420, v67 :: v_dual_sub_f32 v93, v93, v134
	v_mul_f32_e32 v134, 0xbf06c442, v83
	s_delay_alu instid0(VALU_DEP_4) | instskip(SKIP_3) | instid1(VALU_DEP_3)
	v_sub_f32_e32 v117, v117, v131
	v_mul_f32_e32 v131, 0xbeb8f4ab, v72
	v_add_f32_e32 v109, v123, v109
	v_dual_mul_f32 v142, 0x3f3d2fb0, v69 :: v_dual_add_f32 v129, v9, v140
	v_dual_add_f32 v117, v117, v118 :: v_dual_sub_f32 v122, v122, v131
	v_add_f32_e32 v121, v121, v128
	v_dual_mul_f32 v128, 0xbe3c28d5, v68 :: v_dual_add_f32 v111, v112, v111
	s_delay_alu instid0(VALU_DEP_4) | instskip(NEXT) | instid1(VALU_DEP_4)
	v_add_f32_e32 v93, v93, v129
	v_dual_add_f32 v117, v122, v117 :: v_dual_mul_f32 v122, 0x3f65296c, v80
	v_dual_sub_f32 v98, v98, v132 :: v_dual_mul_f32 v135, 0xbf1a4643, v65
	v_mul_f32_e32 v119, 0x3f06c442, v70
	v_mul_f32_e32 v112, 0x3f6eb680, v82
	s_delay_alu instid0(VALU_DEP_3)
	v_dual_add_f32 v84, v141, v84 :: v_dual_add_f32 v93, v98, v93
	v_sub_f32_e32 v98, v101, v128
	v_mul_f32_e32 v118, 0x3f763a35, v72
	v_mul_f32_e32 v131, 0x3f6eb680, v71
	v_add_f32_e32 v110, v110, v111
	v_dual_add_f32 v111, v142, v114 :: v_dual_add_f32 v114, v115, v117
	v_add_f32_e32 v87, v136, v87
	v_dual_add_f32 v84, v8, v84 :: v_dual_add_f32 v93, v98, v93
	v_dual_sub_f32 v98, v103, v119 :: v_dual_mul_f32 v81, 0x3f3d2fb0, v81
	v_dual_sub_f32 v115, v124, v134 :: v_dual_add_f32 v116, v131, v116
	s_delay_alu instid0(VALU_DEP_3) | instskip(SKIP_1) | instid1(VALU_DEP_4)
	v_add_f32_e32 v84, v87, v84
	v_add_f32_e32 v87, v135, v91
	;; [unrolled: 1-line block ×3, first 2 shown]
	v_sub_f32_e32 v93, v105, v118
	v_mul_f32_e32 v98, 0x3f6eb680, v78
	v_add_f32_e32 v111, v111, v110
	v_add_f32_e32 v110, v115, v114
	s_delay_alu instid0(VALU_DEP_4) | instskip(NEXT) | instid1(VALU_DEP_4)
	v_dual_add_f32 v78, v87, v84 :: v_dual_add_f32 v87, v93, v91
	v_fmamk_f32 v91, v64, 0x3eb8f4ab, v98
	v_add_f32_e32 v121, v121, v125
	v_mul_f32_e32 v125, 0xbf59a7d5, v69
	v_sub_f32_e32 v93, v107, v122
	v_mul_f32_e32 v95, 0xbe8c1d8e, v95
	v_dual_add_f32 v91, v9, v91 :: v_dual_mul_f32 v86, 0x3ee437d1, v86
	v_mul_f32_e32 v73, 0xbeb8f4ab, v73
	s_delay_alu instid0(VALU_DEP_4)
	v_add_f32_e32 v87, v93, v87
	v_mul_f32_e32 v75, 0xbf2c7751, v75
	v_add_f32_e32 v11, v9, v11
	v_fmamk_f32 v93, v66, 0x3f65296c, v86
	v_add_f32_e32 v84, v126, v94
	v_fmamk_f32 v94, v63, 0x3f2c7751, v81
	v_dual_add_f32 v10, v10, v36 :: v_dual_mul_f32 v77, 0xbf65296c, v77
	v_add_f32_e32 v11, v11, v37
	v_mul_f32_e32 v37, 0xbf59a7d5, v92
	s_delay_alu instid0(VALU_DEP_4) | instskip(SKIP_1) | instid1(VALU_DEP_4)
	v_add_f32_e32 v91, v94, v91
	v_sub_f32_e32 v94, v108, v127
	v_dual_add_f32 v10, v10, v38 :: v_dual_add_f32 v11, v11, v39
	v_mul_f32_e32 v39, 0xbf763a35, v79
	s_delay_alu instid0(VALU_DEP_4) | instskip(SKIP_3) | instid1(VALU_DEP_3)
	v_dual_add_f32 v91, v93, v91 :: v_dual_add_f32 v78, v84, v78
	v_dual_add_f32 v84, v125, v100 :: v_dual_fmamk_f32 v93, v68, 0x3f7ee86f, v90
	v_add_f32_e32 v100, v137, v104
	v_dual_mul_f32 v36, 0xbf7ee86f, v76 :: v_dual_add_f32 v11, v11, v33
	v_add_f32_e32 v78, v84, v78
	v_dual_add_f32 v84, v133, v102 :: v_dual_fmamk_f32 v79, v80, 0x3f06c442, v37
	v_dual_add_f32 v10, v10, v32 :: v_dual_fmamk_f32 v33, v69, 0xbe8c1d8e, v39
	s_delay_alu instid0(VALU_DEP_2)
	v_dual_add_f32 v11, v11, v35 :: v_dual_add_f32 v84, v84, v78
	v_add_f32_e32 v78, v94, v87
	v_add_f32_e32 v87, v93, v91
	v_mul_f32_e32 v93, 0xbf1a4643, v96
	v_dual_fmamk_f32 v91, v70, 0x3f763a35, v95 :: v_dual_add_f32 v96, v112, v106
	v_add_f32_e32 v84, v100, v84
	v_fmamk_f32 v100, v62, 0x3f3d2fb0, v75
	s_delay_alu instid0(VALU_DEP_3) | instskip(SKIP_3) | instid1(VALU_DEP_3)
	v_dual_add_f32 v10, v10, v34 :: v_dual_add_f32 v87, v91, v87
	v_fmamk_f32 v91, v72, 0x3f4c4adb, v93
	v_dual_fmamk_f32 v94, v61, 0x3f6eb680, v73 :: v_dual_add_f32 v11, v11, v29
	v_mul_f32_e32 v29, 0xbf7ba420, v99
	v_dual_fmac_f32 v98, 0xbeb8f4ab, v64 :: v_dual_add_f32 v87, v91, v87
	s_delay_alu instid0(VALU_DEP_3) | instskip(SKIP_2) | instid1(VALU_DEP_3)
	v_dual_add_f32 v94, v8, v94 :: v_dual_add_f32 v11, v11, v31
	v_mul_f32_e32 v31, 0xbe3c28d5, v97
	v_fmac_f32_e32 v81, 0xbf2c7751, v63
	v_dual_add_f32 v34, v79, v87 :: v_dual_add_f32 v91, v100, v94
	v_fmamk_f32 v94, v65, 0x3ee437d1, v77
	v_fmamk_f32 v38, v67, 0x3dbcf732, v36
	v_add_f32_e32 v25, v11, v25
	v_fmac_f32_e32 v93, 0xbf4c4adb, v72
	v_fmac_f32_e32 v90, 0xbf7ee86f, v68
	v_add_f32_e32 v76, v94, v91
	v_add_f32_e32 v101, v116, v111
	;; [unrolled: 1-line block ×4, first 2 shown]
	v_fma_f32 v155, 0x3ee437d1, v99, -v169
	v_add_f32_e32 v32, v38, v76
	v_mul_f32_e32 v38, 0xbf4c4adb, v85
	v_add_f32_e32 v21, v25, v21
	v_fmac_f32_e32 v95, 0xbf763a35, v70
	v_add_f32_e32 v101, v109, v101
	s_delay_alu instid0(VALU_DEP_4) | instskip(SKIP_2) | instid1(VALU_DEP_3)
	v_dual_add_f32 v32, v33, v32 :: v_dual_fmamk_f32 v33, v71, 0xbf1a4643, v38
	v_add_f32_e32 v10, v10, v28
	v_dual_mul_f32 v28, 0xbf06c442, v88 :: v_dual_add_f32 v21, v21, v23
	v_dual_add_f32 v109, v103, v101 :: v_dual_add_f32 v32, v33, v32
	s_delay_alu instid0(VALU_DEP_3) | instskip(NEXT) | instid1(VALU_DEP_3)
	v_dual_fmamk_f32 v33, v83, 0x3e3c28d5, v29 :: v_dual_add_f32 v10, v10, v30
	v_dual_fmamk_f32 v30, v74, 0xbf59a7d5, v28 :: v_dual_add_f32 v17, v21, v17
	v_add_f32_e32 v9, v9, v98
	v_fmac_f32_e32 v37, 0xbf06c442, v80
	s_delay_alu instid0(VALU_DEP_4) | instskip(NEXT) | instid1(VALU_DEP_4)
	v_add_f32_e32 v10, v10, v24
	v_add_f32_e32 v24, v30, v32
	s_delay_alu instid0(VALU_DEP_4) | instskip(NEXT) | instid1(VALU_DEP_3)
	v_dual_fmamk_f32 v30, v82, 0xbf7ba420, v31 :: v_dual_add_f32 v9, v81, v9
	v_dual_add_f32 v17, v17, v19 :: v_dual_add_f32 v26, v10, v26
	v_fmac_f32_e32 v86, 0xbf65296c, v66
	s_delay_alu instid0(VALU_DEP_3) | instskip(SKIP_1) | instid1(VALU_DEP_4)
	v_add_f32_e32 v10, v30, v24
	v_fma_f32 v24, 0x3f6eb680, v61, -v73
	v_dual_add_f32 v13, v17, v13 :: v_dual_add_f32 v20, v26, v20
	s_delay_alu instid0(VALU_DEP_4) | instskip(NEXT) | instid1(VALU_DEP_3)
	v_add_f32_e32 v9, v86, v9
	v_dual_fmac_f32 v29, 0xbe3c28d5, v83 :: v_dual_add_f32 v8, v8, v24
	v_fma_f32 v24, 0x3f3d2fb0, v62, -v75
	s_delay_alu instid0(VALU_DEP_3) | instskip(SKIP_1) | instid1(VALU_DEP_3)
	v_dual_add_f32 v20, v20, v22 :: v_dual_add_f32 v9, v90, v9
	v_fma_f32 v22, 0x3ee437d1, v65, -v77
	v_dual_add_f32 v13, v13, v15 :: v_dual_add_f32 v8, v24, v8
	s_delay_alu instid0(VALU_DEP_3) | instskip(SKIP_2) | instid1(VALU_DEP_4)
	v_add_f32_e32 v16, v20, v16
	v_fma_f32 v20, 0x3dbcf732, v67, -v36
	v_add_f32_e32 v9, v95, v9
	v_dual_add_f32 v5, v13, v5 :: v_dual_add_f32 v8, v22, v8
	s_delay_alu instid0(VALU_DEP_4)
	v_add_f32_e32 v16, v16, v18
	v_fma_f32 v18, 0xbe8c1d8e, v69, -v39
	v_add_f32_e32 v11, v33, v34
	v_mad_u32_u24 v13, 0x88, v42, 0
	v_add_f32_e32 v77, v96, v84
	v_add_f32_e32 v12, v16, v12
	v_fma_f32 v16, 0xbf1a4643, v71, -v38
	v_add_f32_e32 v88, v120, v121
	s_delay_alu instid0(VALU_DEP_3) | instskip(SKIP_2) | instid1(VALU_DEP_2)
	v_dual_add_f32 v147, v155, v157 :: v_dual_add_f32 v12, v12, v14
	v_dual_add_f32 v9, v93, v9 :: v_dual_add_f32 v8, v20, v8
	v_fma_f32 v14, 0xbf59a7d5, v74, -v28
	v_dual_add_f32 v4, v12, v4 :: v_dual_add_f32 v9, v37, v9
	s_delay_alu instid0(VALU_DEP_3) | instskip(SKIP_1) | instid1(VALU_DEP_2)
	v_add_f32_e32 v8, v18, v8
	v_fma_f32 v12, 0xbf7ba420, v82, -v31
	v_dual_add_f32 v9, v29, v9 :: v_dual_add_f32 v8, v16, v8
	s_delay_alu instid0(VALU_DEP_1) | instskip(NEXT) | instid1(VALU_DEP_1)
	v_add_f32_e32 v8, v14, v8
	v_add_f32_e32 v8, v12, v8
	ds_store_2addr_b64 v13, v[4:5], v[10:11] offset1:1
	ds_store_2addr_b64 v13, v[77:78], v[109:110] offset0:2 offset1:3
	ds_store_2addr_b64 v13, v[88:89], v[138:139] offset0:4 offset1:5
	;; [unrolled: 1-line block ×7, first 2 shown]
	ds_store_b64 v13, v[8:9] offset:128
.LBB0_23:
	s_wait_alu 0xfffe
	s_or_b32 exec_lo, exec_lo, s1
	v_and_b32_e32 v4, 0xff, v42
	global_wb scope:SCOPE_SE
	s_wait_dscnt 0x0
	s_barrier_signal -1
	s_barrier_wait -1
	global_inv scope:SCOPE_SE
	v_mul_lo_u16 v4, 0xf1, v4
	v_cmp_gt_u32_e64 s0, 0x55, v42
	s_delay_alu instid0(VALU_DEP_2) | instskip(NEXT) | instid1(VALU_DEP_1)
	v_lshrrev_b16 v17, 12, v4
	v_mul_lo_u16 v4, v17, 17
	v_and_b32_e32 v17, 0xffff, v17
	s_delay_alu instid0(VALU_DEP_2) | instskip(NEXT) | instid1(VALU_DEP_1)
	v_sub_nc_u16 v4, v42, v4
	v_and_b32_e32 v16, 0xff, v4
	s_delay_alu instid0(VALU_DEP_1) | instskip(NEXT) | instid1(VALU_DEP_1)
	v_mul_u32_u24_e32 v4, 12, v16
	v_lshlrev_b32_e32 v4, 3, v4
	s_clause 0x5
	global_load_b128 v[18:21], v4, s[8:9]
	global_load_b128 v[24:27], v4, s[8:9] offset:16
	global_load_b128 v[28:31], v4, s[8:9] offset:32
	;; [unrolled: 1-line block ×5, first 2 shown]
	v_add_nc_u32_e32 v4, 0x800, v58
	ds_load_2addr_b64 v[8:11], v58 offset1:136
	ds_load_2addr_b64 v[50:53], v4 offset0:16 offset1:152
	ds_load_2addr_b64 v[54:57], v59 offset0:32 offset1:168
	ds_load_2addr_b64 v[59:62], v60 offset0:48 offset1:184
	v_add_nc_u32_e32 v4, 0x2800, v58
	s_wait_loadcnt_dscnt 0x402
	v_dual_mul_f32 v15, v19, v10 :: v_dual_mul_f32 v74, v25, v53
	v_mul_f32_e32 v75, v25, v52
	s_wait_dscnt 0x1
	v_mul_f32_e32 v25, v27, v55
	v_mul_f32_e32 v27, v27, v54
	ds_load_2addr_b64 v[63:66], v43 offset0:64 offset1:200
	ds_load_2addr_b64 v[67:70], v4 offset0:80 offset1:216
	ds_load_b64 v[71:72], v58 offset:13056
	v_mul_f32_e32 v43, v19, v11
	v_mul_f32_e32 v73, v21, v51
	;; [unrolled: 1-line block ×3, first 2 shown]
	s_wait_loadcnt 0x3
	v_mul_f32_e32 v23, v57, v29
	v_mul_f32_e32 v29, v56, v29
	s_wait_dscnt 0x3
	v_mul_f32_e32 v21, v60, v31
	v_fmac_f32_e32 v73, v20, v50
	v_fma_f32 v50, v20, v51, -v22
	v_fma_f32 v27, v26, v55, -v27
	;; [unrolled: 1-line block ×4, first 2 shown]
	v_dual_mul_f32 v31, v59, v31 :: v_dual_fmac_f32 v74, v24, v52
	global_wb scope:SCOPE_SE
	s_wait_loadcnt_dscnt 0x0
	s_barrier_signal -1
	s_barrier_wait -1
	v_fma_f32 v24, v60, v30, -v31
	v_dual_mul_f32 v14, v64, v35 :: v_dual_mul_f32 v19, v62, v33
	v_dual_mul_f32 v33, v61, v33 :: v_dual_mul_f32 v12, v70, v47
	;; [unrolled: 1-line block ×3, first 2 shown]
	s_delay_alu instid0(VALU_DEP_3) | instskip(NEXT) | instid1(VALU_DEP_3)
	v_dual_mul_f32 v5, v68, v39 :: v_dual_fmac_f32 v14, v63, v34
	v_dual_fmac_f32 v12, v69, v46 :: v_dual_mul_f32 v39, v67, v39
	v_mul_f32_e32 v13, v72, v49
	v_fmac_f32_e32 v19, v61, v32
	v_fmac_f32_e32 v4, v65, v36
	v_fma_f32 v20, v64, v34, -v35
	v_fmac_f32_e32 v21, v59, v30
	v_fmac_f32_e32 v25, v26, v54
	v_fma_f32 v26, v57, v28, -v29
	v_dual_mul_f32 v49, v71, v49 :: v_dual_add_f32 v34, v73, v12
	v_fma_f32 v15, v68, v38, -v39
	v_fmac_f32_e32 v43, v18, v10
	s_delay_alu instid0(VALU_DEP_4) | instskip(NEXT) | instid1(VALU_DEP_4)
	v_dual_mul_f32 v37, v65, v37 :: v_dual_add_f32 v54, v26, v20
	v_fma_f32 v10, v72, v48, -v49
	v_fma_f32 v22, v62, v32, -v33
	v_fmac_f32_e32 v5, v67, v38
	v_fmac_f32_e32 v23, v56, v28
	v_add_f32_e32 v28, v43, v8
	v_fma_f32 v18, v66, v36, -v37
	v_dual_sub_f32 v33, v76, v10 :: v_dual_sub_f32 v36, v73, v12
	v_fmac_f32_e32 v13, v71, v48
	v_mul_f32_e32 v47, v69, v47
	s_delay_alu instid0(VALU_DEP_4) | instskip(SKIP_1) | instid1(VALU_DEP_4)
	v_dual_add_f32 v29, v76, v9 :: v_dual_sub_f32 v52, v27, v18
	v_sub_f32_e32 v56, v26, v20
	v_add_f32_e32 v30, v43, v13
	s_delay_alu instid0(VALU_DEP_4) | instskip(NEXT) | instid1(VALU_DEP_4)
	v_fma_f32 v11, v70, v46, -v47
	v_dual_sub_f32 v46, v51, v15 :: v_dual_add_f32 v29, v29, v50
	v_mul_f32_e32 v96, 0x3eedf032, v52
	s_delay_alu instid0(VALU_DEP_3) | instskip(NEXT) | instid1(VALU_DEP_3)
	v_dual_add_f32 v48, v27, v18 :: v_dual_sub_f32 v37, v50, v11
	v_dual_mul_f32 v82, 0xbf7e222b, v46 :: v_dual_add_f32 v35, v50, v11
	v_add_f32_e32 v31, v76, v10
	s_delay_alu instid0(VALU_DEP_3) | instskip(SKIP_1) | instid1(VALU_DEP_4)
	v_dual_add_f32 v39, v51, v15 :: v_dual_mul_f32 v78, 0x3f29c268, v37
	v_mul_f32_e32 v76, 0xbe750f2a, v37
	v_mul_f32_e32 v72, 0x3f116cb1, v35
	s_delay_alu instid0(VALU_DEP_4)
	v_mul_f32_e32 v62, 0x3f62ad3f, v31
	v_mul_f32_e32 v50, 0xbeedf032, v33
	v_sub_f32_e32 v32, v43, v13
	v_add_f32_e32 v28, v28, v73
	v_dual_sub_f32 v43, v74, v5 :: v_dual_mul_f32 v64, 0x3f116cb1, v31
	v_dual_mul_f32 v63, 0xbf52af12, v33 :: v_dual_mul_f32 v90, 0xbf52af12, v46
	v_dual_mul_f32 v65, 0xbf7e222b, v33 :: v_dual_mul_f32 v98, 0xbf7e222b, v52
	v_mul_f32_e32 v67, 0xbf6f5d39, v33
	v_mul_f32_e32 v69, 0xbf29c268, v33
	v_dual_mul_f32 v33, 0xbe750f2a, v33 :: v_dual_add_f32 v28, v28, v74
	v_dual_add_f32 v38, v74, v5 :: v_dual_add_f32 v53, v23, v14
	v_dual_mul_f32 v70, 0xbf3f9e67, v31 :: v_dual_sub_f32 v55, v23, v14
	v_dual_mul_f32 v80, 0x3f7e222b, v37 :: v_dual_add_f32 v59, v24, v22
	v_mul_f32_e32 v92, 0xbf6f5d39, v52
	v_sub_f32_e32 v60, v21, v19
	v_dual_add_f32 v47, v25, v4 :: v_dual_mul_f32 v66, 0x3df6dbef, v31
	v_dual_sub_f32 v49, v25, v4 :: v_dual_mul_f32 v68, 0xbeb58ec6, v31
	v_dual_sub_f32 v61, v24, v22 :: v_dual_mul_f32 v94, 0x3f29c268, v52
	v_dual_mul_f32 v31, 0xbf788fa5, v31 :: v_dual_fmamk_f32 v122, v30, 0xbf788fa5, v33
	v_dual_mul_f32 v71, 0xbf52af12, v37 :: v_dual_mul_f32 v106, 0xbf52af12, v56
	v_mul_f32_e32 v73, 0xbf6f5d39, v37
	v_dual_mul_f32 v37, 0x3eedf032, v37 :: v_dual_mul_f32 v88, 0x3eedf032, v46
	v_dual_mul_f32 v86, 0x3f6f5d39, v46 :: v_dual_add_f32 v29, v29, v51
	v_dual_mul_f32 v100, 0x3e750f2a, v52 :: v_dual_fmamk_f32 v123, v32, 0x3e750f2a, v31
	v_dual_mul_f32 v52, 0x3f52af12, v52 :: v_dual_fmamk_f32 v115, v32, 0x3f52af12, v64
	v_fmamk_f32 v51, v30, 0x3f62ad3f, v50
	v_dual_add_f32 v57, v21, v19 :: v_dual_mul_f32 v84, 0xbe750f2a, v46
	v_mul_f32_e32 v75, 0xbeb58ec6, v35
	v_dual_mul_f32 v77, 0xbf788fa5, v35 :: v_dual_fmamk_f32 v126, v34, 0xbf788fa5, v76
	v_dual_mul_f32 v81, 0x3df6dbef, v35 :: v_dual_fmamk_f32 v116, v30, 0x3df6dbef, v65
	;; [unrolled: 1-line block ×5, first 2 shown]
	v_mul_f32_e32 v91, 0x3f116cb1, v39
	v_mul_f32_e32 v46, 0xbf29c268, v46
	v_dual_mul_f32 v79, 0xbf3f9e67, v35 :: v_dual_fmamk_f32 v120, v30, 0xbf3f9e67, v69
	v_dual_mul_f32 v35, 0x3f62ad3f, v35 :: v_dual_fmamk_f32 v132, v34, 0x3f62ad3f, v37
	s_delay_alu instid0(VALU_DEP_3)
	v_dual_mul_f32 v95, 0xbf3f9e67, v48 :: v_dual_fmamk_f32 v142, v38, 0xbf3f9e67, v46
	v_dual_mul_f32 v97, 0x3f62ad3f, v48 :: v_dual_fmamk_f32 v146, v47, 0x3f62ad3f, v96
	v_mul_f32_e32 v99, 0x3df6dbef, v48
	v_dual_mul_f32 v101, 0xbf788fa5, v48 :: v_dual_fmamk_f32 v150, v47, 0xbf788fa5, v100
	v_dual_mul_f32 v102, 0xbf29c268, v56 :: v_dual_fmamk_f32 v129, v36, 0xbf29c268, v79
	;; [unrolled: 1-line block ×6, first 2 shown]
	v_mul_f32_e32 v110, 0x3eedf032, v56
	v_mul_f32_e32 v56, 0xbf6f5d39, v56
	v_dual_mul_f32 v87, 0xbeb58ec6, v39 :: v_dual_fmamk_f32 v118, v30, 0xbeb58ec6, v67
	v_dual_mul_f32 v39, 0xbf3f9e67, v39 :: v_dual_fmamk_f32 v128, v34, 0xbf3f9e67, v78
	v_dual_mul_f32 v112, 0xbe750f2a, v61 :: v_dual_fmac_f32 v31, 0xbe750f2a, v32
	v_mul_f32_e32 v113, 0xbf788fa5, v59
	v_fmamk_f32 v74, v32, 0x3eedf032, v62
	v_fma_f32 v50, 0x3f62ad3f, v30, -v50
	v_dual_fmac_f32 v62, 0xbeedf032, v32 :: v_dual_fmamk_f32 v133, v36, 0xbeedf032, v35
	v_fma_f32 v63, 0x3f116cb1, v30, -v63
	v_fma_f32 v65, 0x3df6dbef, v30, -v65
	v_dual_fmac_f32 v66, 0xbf7e222b, v32 :: v_dual_fmamk_f32 v131, v36, 0xbf7e222b, v81
	v_fmamk_f32 v119, v32, 0x3f6f5d39, v68
	v_fma_f32 v67, 0xbeb58ec6, v30, -v67
	v_fmac_f32_e32 v68, 0xbf6f5d39, v32
	v_dual_mul_f32 v93, 0xbeb58ec6, v48 :: v_dual_fmamk_f32 v124, v34, 0xbeb58ec6, v73
	v_mul_f32_e32 v48, 0x3f116cb1, v48
	v_fmac_f32_e32 v64, 0xbf52af12, v32
	v_fmamk_f32 v121, v32, 0x3f29c268, v70
	v_fma_f32 v69, 0xbf3f9e67, v30, -v69
	v_fmac_f32_e32 v70, 0xbf29c268, v32
	v_fma_f32 v30, 0xbf788fa5, v30, -v33
	v_dual_fmamk_f32 v32, v34, 0x3f116cb1, v71 :: v_dual_add_f32 v25, v28, v25
	v_dual_fmamk_f32 v136, v38, 0xbeb58ec6, v86 :: v_dual_add_f32 v27, v29, v27
	v_dual_add_f32 v28, v51, v8 :: v_dual_mul_f32 v105, 0x3df6dbef, v54
	v_fmamk_f32 v148, v47, 0x3df6dbef, v98
	v_dual_mul_f32 v109, 0xbf788fa5, v54 :: v_dual_fmamk_f32 v158, v53, 0xbf788fa5, v108
	v_dual_fmamk_f32 v33, v36, 0x3f52af12, v72 :: v_dual_add_f32 v50, v50, v8
	v_fma_f32 v71, 0x3f116cb1, v34, -v71
	v_fmac_f32_e32 v72, 0xbf52af12, v36
	v_fma_f32 v73, 0xbeb58ec6, v34, -v73
	v_fma_f32 v76, 0xbf788fa5, v34, -v76
	;; [unrolled: 1-line block ×3, first 2 shown]
	v_fmac_f32_e32 v79, 0x3f29c268, v36
	v_fma_f32 v80, 0x3df6dbef, v34, -v80
	v_dual_fmac_f32 v81, 0x3f7e222b, v36 :: v_dual_add_f32 v66, v66, v9
	v_fma_f32 v34, 0x3f62ad3f, v34, -v37
	v_fmac_f32_e32 v35, 0x3eedf032, v36
	v_fmamk_f32 v37, v43, 0x3f7e222b, v83
	v_dual_fmamk_f32 v135, v43, 0x3e750f2a, v85 :: v_dual_add_f32 v68, v68, v9
	v_fma_f32 v84, 0xbf788fa5, v38, -v84
	v_fma_f32 v86, 0xbeb58ec6, v38, -v86
	v_fmamk_f32 v139, v43, 0xbeedf032, v89
	v_fma_f32 v88, 0x3f62ad3f, v38, -v88
	v_fmac_f32_e32 v89, 0x3eedf032, v43
	v_dual_mul_f32 v111, 0x3f62ad3f, v54 :: v_dual_fmamk_f32 v160, v53, 0x3f62ad3f, v110
	v_mul_f32_e32 v54, 0xbeb58ec6, v54
	v_fmamk_f32 v125, v36, 0x3f6f5d39, v75
	v_fmac_f32_e32 v75, 0xbf6f5d39, v36
	v_dual_fmamk_f32 v140, v38, 0x3f116cb1, v90 :: v_dual_add_f32 v63, v63, v8
	v_fmamk_f32 v141, v43, 0x3f52af12, v91
	v_fma_f32 v90, 0x3f116cb1, v38, -v90
	v_fmac_f32_e32 v91, 0xbf52af12, v43
	v_dual_fmac_f32 v77, 0xbe750f2a, v36 :: v_dual_add_f32 v64, v64, v9
	v_fmamk_f32 v36, v38, 0x3df6dbef, v82
	v_fma_f32 v82, 0x3df6dbef, v38, -v82
	v_fmamk_f32 v143, v43, 0x3f29c268, v39
	v_fma_f32 v38, 0xbf3f9e67, v38, -v46
	v_fmac_f32_e32 v39, 0xbf29c268, v43
	v_dual_fmamk_f32 v137, v43, 0xbf6f5d39, v87 :: v_dual_add_f32 v70, v70, v9
	v_fmamk_f32 v46, v49, 0x3f6f5d39, v93
	v_fmac_f32_e32 v83, 0xbf7e222b, v43
	v_fmac_f32_e32 v93, 0xbf6f5d39, v49
	v_fma_f32 v94, 0xbf3f9e67, v47, -v94
	v_fma_f32 v96, 0x3f62ad3f, v47, -v96
	v_fmamk_f32 v149, v49, 0x3f7e222b, v99
	v_fmamk_f32 v151, v49, 0xbe750f2a, v101
	v_dual_fmac_f32 v101, 0x3e750f2a, v49 :: v_dual_add_f32 v70, v81, v70
	v_dual_fmamk_f32 v152, v47, 0x3f116cb1, v52 :: v_dual_add_f32 v29, v74, v9
	v_fmamk_f32 v153, v49, 0xbf52af12, v48
	v_fmac_f32_e32 v48, 0x3f52af12, v49
	v_dual_fmamk_f32 v154, v53, 0x3df6dbef, v104 :: v_dual_add_f32 v51, v62, v9
	v_fma_f32 v104, 0x3df6dbef, v53, -v104
	v_fmamk_f32 v156, v53, 0x3f116cb1, v106
	v_fma_f32 v106, 0x3f116cb1, v53, -v106
	v_fma_f32 v108, 0xbf788fa5, v53, -v108
	;; [unrolled: 1-line block ×3, first 2 shown]
	v_dual_fmamk_f32 v162, v53, 0xbeb58ec6, v56 :: v_dual_add_f32 v67, v67, v8
	v_add_f32_e32 v62, v115, v9
	v_dual_add_f32 v74, v116, v8 :: v_dual_fmamk_f32 v145, v49, 0xbf29c268, v95
	v_fmac_f32_e32 v95, 0x3f29c268, v49
	v_add_f32_e32 v65, v65, v8
	v_fmamk_f32 v147, v49, 0xbeedf032, v97
	v_fmac_f32_e32 v97, 0x3eedf032, v49
	v_dual_add_f32 v115, v118, v8 :: v_dual_add_f32 v116, v119, v9
	v_fmac_f32_e32 v99, 0xbf7e222b, v49
	v_add_f32_e32 v69, v69, v8
	v_add_f32_e32 v119, v122, v8
	;; [unrolled: 1-line block ×3, first 2 shown]
	v_dual_add_f32 v25, v27, v26 :: v_dual_add_f32 v26, v32, v28
	v_fmamk_f32 v49, v53, 0xbf3f9e67, v102
	v_fma_f32 v102, 0xbf3f9e67, v53, -v102
	v_fma_f32 v53, 0xbeb58ec6, v53, -v56
	v_add_f32_e32 v56, v114, v8
	v_dual_add_f32 v114, v117, v9 :: v_dual_add_f32 v117, v120, v8
	v_dual_add_f32 v8, v30, v8 :: v_dual_fmac_f32 v85, 0xbe750f2a, v43
	v_dual_fmac_f32 v87, 0x3f6f5d39, v43 :: v_dual_add_f32 v120, v123, v9
	s_delay_alu instid0(VALU_DEP_4)
	v_dual_fmamk_f32 v43, v47, 0xbeb58ec6, v92 :: v_dual_add_f32 v30, v124, v56
	v_add_f32_e32 v28, v71, v50
	v_add_f32_e32 v32, v73, v63
	;; [unrolled: 1-line block ×3, first 2 shown]
	v_fma_f32 v92, 0xbeb58ec6, v47, -v92
	v_fmamk_f32 v155, v55, 0xbf7e222b, v105
	v_fmac_f32_e32 v105, 0x3f7e222b, v55
	v_fmamk_f32 v157, v55, 0x3f52af12, v107
	v_dual_add_f32 v21, v23, v21 :: v_dual_add_f32 v8, v38, v8
	v_dual_add_f32 v23, v25, v24 :: v_dual_add_f32 v24, v36, v26
	v_add_f32_e32 v26, v82, v28
	v_add_f32_e32 v28, v134, v30
	;; [unrolled: 1-line block ×3, first 2 shown]
	v_fma_f32 v98, 0x3df6dbef, v47, -v98
	v_fma_f32 v100, 0xbf788fa5, v47, -v100
	;; [unrolled: 1-line block ×3, first 2 shown]
	v_fmamk_f32 v52, v55, 0x3f29c268, v103
	v_add_f32_e32 v118, v121, v9
	v_add_f32_e32 v9, v31, v9
	;; [unrolled: 1-line block ×4, first 2 shown]
	v_dual_add_f32 v50, v126, v74 :: v_dual_add_f32 v19, v21, v19
	v_add_f32_e32 v21, v23, v22
	v_add_f32_e32 v22, v43, v24
	;; [unrolled: 1-line block ×3, first 2 shown]
	v_dual_add_f32 v56, v76, v65 :: v_dual_add_f32 v65, v78, v67
	v_add_f32_e32 v26, v144, v28
	v_add_f32_e32 v28, v94, v30
	v_dual_add_f32 v67, v130, v117 :: v_dual_add_f32 v8, v47, v8
	v_dual_fmamk_f32 v159, v55, 0xbe750f2a, v109 :: v_dual_add_f32 v32, v136, v50
	v_dual_fmac_f32 v109, 0x3e750f2a, v55 :: v_dual_add_f32 v34, v86, v56
	s_delay_alu instid0(VALU_DEP_3)
	v_dual_fmamk_f32 v163, v55, 0x3f6f5d39, v54 :: v_dual_add_f32 v56, v140, v67
	v_add_f32_e32 v63, v128, v115
	v_fmac_f32_e32 v107, 0xbf52af12, v55
	v_fmac_f32_e32 v54, 0xbf6f5d39, v55
	v_dual_add_f32 v29, v72, v51 :: v_dual_add_f32 v30, v146, v32
	v_dual_add_f32 v50, v88, v65 :: v_dual_add_f32 v33, v75, v64
	v_add_f32_e32 v32, v96, v34
	v_dual_add_f32 v69, v80, v69 :: v_dual_add_f32 v14, v19, v14
	v_dual_add_f32 v38, v150, v56 :: v_dual_fmamk_f32 v161, v55, 0xbeedf032, v111
	v_add_f32_e32 v36, v138, v63
	v_fmac_f32_e32 v111, 0x3eedf032, v55
	v_add_f32_e32 v51, v127, v114
	v_add_f32_e32 v62, v77, v66
	;; [unrolled: 1-line block ×3, first 2 shown]
	v_dual_add_f32 v27, v83, v29 :: v_dual_add_f32 v34, v148, v36
	v_dual_add_f32 v29, v135, v31 :: v_dual_add_f32 v36, v98, v50
	v_add_f32_e32 v31, v85, v33
	v_dual_add_f32 v33, v137, v51 :: v_dual_add_f32 v4, v14, v4
	v_add_f32_e32 v71, v132, v119
	v_add_f32_e32 v9, v35, v9
	;; [unrolled: 1-line block ×3, first 2 shown]
	s_delay_alu instid0(VALU_DEP_4) | instskip(SKIP_3) | instid1(VALU_DEP_4)
	v_dual_add_f32 v19, v21, v20 :: v_dual_add_f32 v4, v4, v5
	v_add_f32_e32 v66, v79, v68
	v_add_f32_e32 v68, v131, v118
	v_dual_add_f32 v20, v49, v22 :: v_dual_add_f32 v65, v142, v71
	v_add_f32_e32 v4, v4, v12
	v_mul_f32_e32 v12, 0xbf29c268, v61
	v_dual_add_f32 v63, v90, v69 :: v_dual_add_f32 v14, v19, v18
	v_add_f32_e32 v62, v141, v68
	v_dual_add_f32 v22, v102, v24 :: v_dual_add_f32 v9, v39, v9
	s_delay_alu instid0(VALU_DEP_3) | instskip(NEXT) | instid1(VALU_DEP_3)
	v_dual_add_f32 v64, v129, v116 :: v_dual_add_f32 v5, v14, v15
	v_add_f32_e32 v39, v151, v62
	v_add_f32_e32 v24, v154, v26
	v_dual_add_f32 v26, v104, v28 :: v_dual_add_f32 v23, v46, v25
	s_delay_alu instid0(VALU_DEP_4)
	v_add_f32_e32 v5, v5, v11
	v_dual_add_f32 v47, v53, v8 :: v_dual_add_f32 v18, v4, v13
	v_mul_f32_e32 v8, 0x3eedf032, v61
	v_fmamk_f32 v4, v60, 0x3e750f2a, v113
	v_mul_f32_e32 v15, 0x3f52af12, v61
	v_add_f32_e32 v9, v48, v9
	v_dual_fmac_f32 v103, 0xbf29c268, v55 :: v_dual_add_f32 v72, v133, v120
	v_fmamk_f32 v55, v57, 0xbf788fa5, v112
	v_add_f32_e32 v37, v139, v64
	v_dual_add_f32 v64, v91, v70 :: v_dual_add_f32 v43, v100, v63
	v_add_f32_e32 v28, v156, v30
	v_dual_add_f32 v30, v106, v32 :: v_dual_add_f32 v25, v93, v27
	v_dual_add_f32 v20, v55, v20 :: v_dual_add_f32 v21, v52, v23
	v_add_f32_e32 v32, v158, v34
	v_add_f32_e32 v34, v108, v36
	v_dual_add_f32 v48, v54, v9 :: v_dual_add_f32 v19, v5, v10
	v_fma_f32 v5, 0xbf788fa5, v57, -v112
	v_dual_mul_f32 v9, 0x3f62ad3f, v59 :: v_dual_fmamk_f32 v10, v57, 0x3f62ad3f, v8
	v_add_f32_e32 v27, v145, v29
	v_add_f32_e32 v29, v95, v31
	;; [unrolled: 1-line block ×3, first 2 shown]
	v_fmac_f32_e32 v113, 0xbe750f2a, v60
	v_dual_add_f32 v21, v4, v21 :: v_dual_add_f32 v4, v5, v22
	v_dual_fmamk_f32 v11, v60, 0xbeedf032, v9 :: v_dual_add_f32 v22, v10, v24
	v_add_f32_e32 v25, v155, v27
	v_add_f32_e32 v27, v105, v29
	v_fmac_f32_e32 v9, 0x3eedf032, v60
	v_dual_add_f32 v51, v89, v66 :: v_dual_add_f32 v66, v143, v72
	v_dual_add_f32 v31, v147, v33 :: v_dual_fmamk_f32 v14, v57, 0xbf3f9e67, v12
	v_add_f32_e32 v5, v113, v23
	v_fma_f32 v8, 0x3f62ad3f, v57, -v8
	v_add_f32_e32 v33, v97, v35
	v_add_f32_e32 v23, v11, v25
	v_mul_f32_e32 v13, 0xbf3f9e67, v59
	s_delay_alu instid0(VALU_DEP_4)
	v_dual_add_f32 v11, v9, v27 :: v_dual_add_f32 v10, v8, v26
	v_fma_f32 v9, 0xbf3f9e67, v57, -v12
	v_fmamk_f32 v12, v57, 0x3f116cb1, v15
	v_dual_add_f32 v36, v160, v38 :: v_dual_add_f32 v35, v149, v37
	v_fmamk_f32 v8, v60, 0x3f29c268, v13
	v_add_f32_e32 v38, v110, v43
	v_dual_add_f32 v37, v99, v51 :: v_dual_add_f32 v24, v14, v28
	v_dual_add_f32 v51, v153, v66 :: v_dual_mul_f32 v28, 0x3f116cb1, v59
	v_add_f32_e32 v29, v157, v31
	v_fmac_f32_e32 v13, 0xbf29c268, v60
	v_add_f32_e32 v26, v12, v32
	v_mul_f32_e32 v12, 0xbf6f5d39, v61
	v_fma_f32 v14, 0x3f116cb1, v57, -v15
	v_dual_add_f32 v31, v107, v33 :: v_dual_add_f32 v46, v101, v64
	v_dual_add_f32 v25, v8, v29 :: v_dual_add_f32 v8, v9, v30
	s_delay_alu instid0(VALU_DEP_2)
	v_dual_add_f32 v14, v14, v34 :: v_dual_add_f32 v9, v13, v31
	v_fmamk_f32 v13, v60, 0xbf52af12, v28
	v_mul_f32_e32 v30, 0xbeb58ec6, v59
	v_fmac_f32_e32 v28, 0x3f52af12, v60
	v_fmamk_f32 v29, v57, 0xbeb58ec6, v12
	v_add_f32_e32 v33, v159, v35
	v_add_f32_e32 v35, v109, v37
	;; [unrolled: 1-line block ×3, first 2 shown]
	v_fma_f32 v12, 0xbeb58ec6, v57, -v12
	v_add_f32_e32 v37, v161, v39
	v_dual_add_f32 v39, v111, v46 :: v_dual_mul_f32 v32, 0x3df6dbef, v59
	v_dual_add_f32 v15, v28, v35 :: v_dual_add_f32 v28, v29, v36
	v_add_f32_e32 v27, v13, v33
	v_fmamk_f32 v13, v60, 0x3f6f5d39, v30
	v_fmac_f32_e32 v30, 0xbf6f5d39, v60
	v_mul_f32_e32 v31, 0x3f7e222b, v61
	v_add_f32_e32 v43, v162, v50
	s_delay_alu instid0(VALU_DEP_4) | instskip(NEXT) | instid1(VALU_DEP_3)
	v_dual_add_f32 v12, v12, v38 :: v_dual_add_f32 v29, v13, v37
	v_dual_add_f32 v13, v30, v39 :: v_dual_fmamk_f32 v30, v57, 0x3df6dbef, v31
	v_fmamk_f32 v33, v60, 0xbf7e222b, v32
	v_fmac_f32_e32 v32, 0x3f7e222b, v60
	v_fma_f32 v31, 0x3df6dbef, v57, -v31
	v_mul_u32_u24_e32 v34, 0x6e8, v17
	v_dual_add_f32 v46, v163, v51 :: v_dual_lshlrev_b32 v35, 3, v16
	v_add_f32_e32 v16, v30, v43
	s_delay_alu instid0(VALU_DEP_4) | instskip(NEXT) | instid1(VALU_DEP_3)
	v_dual_add_f32 v30, v31, v47 :: v_dual_add_f32 v31, v32, v48
	v_add3_u32 v32, 0, v34, v35
	s_delay_alu instid0(VALU_DEP_4)
	v_add_f32_e32 v17, v33, v46
	v_add_nc_u32_e32 v34, 0xd00, v58
	v_add_nc_u32_e32 v33, 0x1b00, v58
	global_inv scope:SCOPE_SE
	ds_store_2addr_b64 v32, v[18:19], v[20:21] offset1:17
	ds_store_2addr_b64 v32, v[22:23], v[24:25] offset0:34 offset1:51
	ds_store_2addr_b64 v32, v[26:27], v[28:29] offset0:68 offset1:85
	;; [unrolled: 1-line block ×5, first 2 shown]
	ds_store_b64 v32, v[4:5] offset:1632
	v_add_nc_u32_e32 v32, 0x2900, v58
	global_wb scope:SCOPE_SE
	s_wait_dscnt 0x0
	s_barrier_signal -1
	s_barrier_wait -1
	global_inv scope:SCOPE_SE
	ds_load_2addr_b64 v[16:19], v58 offset1:221
	ds_load_2addr_b64 v[28:31], v34 offset0:26 offset1:247
	ds_load_2addr_b64 v[24:27], v33 offset0:20 offset1:241
	;; [unrolled: 1-line block ×3, first 2 shown]
	s_and_saveexec_b32 s1, s0
	s_cbranch_execz .LBB0_25
; %bb.24:
	v_add_nc_u32_e32 v0, 0x400, v58
	v_add_nc_u32_e32 v1, 0x1200, v58
	v_add_nc_u32_e32 v2, 0x1f00, v58
	v_add_nc_u32_e32 v3, 0x2d00, v58
	ds_load_2addr_b64 v[12:15], v0 offset0:8 offset1:229
	ds_load_2addr_b64 v[8:11], v1 offset0:2 offset1:223
	;; [unrolled: 1-line block ×4, first 2 shown]
.LBB0_25:
	s_wait_alu 0xfffe
	s_or_b32 exec_lo, exec_lo, s1
	v_mul_u32_u24_e32 v35, 7, v42
	s_delay_alu instid0(VALU_DEP_1)
	v_lshlrev_b32_e32 v39, 3, v35
	s_clause 0x3
	global_load_b128 v[35:38], v39, s[8:9] offset:1632
	global_load_b128 v[46:49], v39, s[8:9] offset:1648
	;; [unrolled: 1-line block ×3, first 2 shown]
	global_load_b64 v[54:55], v39, s[8:9] offset:1680
	global_wb scope:SCOPE_SE
	s_wait_loadcnt_dscnt 0x0
	s_barrier_signal -1
	s_barrier_wait -1
	global_inv scope:SCOPE_SE
	v_mul_f32_e32 v39, v36, v19
	v_dual_mul_f32 v43, v38, v29 :: v_dual_mul_f32 v56, v47, v31
	v_dual_mul_f32 v47, v47, v30 :: v_dual_mul_f32 v60, v53, v21
	;; [unrolled: 1-line block ×4, first 2 shown]
	s_delay_alu instid0(VALU_DEP_4)
	v_fmac_f32_e32 v56, v46, v30
	v_fmac_f32_e32 v39, v35, v18
	;; [unrolled: 1-line block ×3, first 2 shown]
	v_dual_fmac_f32 v60, v52, v20 :: v_dual_fmac_f32 v59, v50, v26
	v_mul_f32_e32 v53, v53, v20
	v_mul_f32_e32 v61, v55, v23
	v_fma_f32 v18, v35, v19, -v36
	v_fma_f32 v19, v37, v29, -v38
	v_fmac_f32_e32 v57, v48, v24
	v_mul_f32_e32 v49, v49, v24
	v_fma_f32 v20, v52, v21, -v53
	v_mul_f32_e32 v55, v55, v22
	s_delay_alu instid0(VALU_DEP_4) | instskip(NEXT) | instid1(VALU_DEP_4)
	v_dual_fmac_f32 v61, v54, v22 :: v_dual_sub_f32 v22, v16, v57
	v_fma_f32 v24, v48, v25, -v49
	s_delay_alu instid0(VALU_DEP_4) | instskip(SKIP_3) | instid1(VALU_DEP_4)
	v_sub_f32_e32 v20, v19, v20
	v_fma_f32 v28, v46, v31, -v47
	v_fma_f32 v21, v54, v23, -v55
	v_fma_f32 v29, v16, 2.0, -v22
	v_add_f32_e32 v35, v22, v20
	v_sub_f32_e32 v23, v17, v24
	s_delay_alu instid0(VALU_DEP_4) | instskip(NEXT) | instid1(VALU_DEP_1)
	v_dual_sub_f32 v24, v43, v60 :: v_dual_sub_f32 v21, v28, v21
	v_sub_f32_e32 v36, v23, v24
	v_mul_f32_e32 v51, v51, v26
	v_sub_f32_e32 v26, v39, v59
	v_fma_f32 v16, v43, 2.0, -v24
	v_fma_f32 v28, v28, 2.0, -v21
	s_delay_alu instid0(VALU_DEP_3) | instskip(SKIP_1) | instid1(VALU_DEP_2)
	v_add_f32_e32 v24, v26, v21
	v_fma_f32 v25, v50, v27, -v51
	v_dual_sub_f32 v37, v29, v16 :: v_dual_fmamk_f32 v16, v24, 0x3f3504f3, v35
	s_delay_alu instid0(VALU_DEP_2) | instskip(SKIP_3) | instid1(VALU_DEP_4)
	v_sub_f32_e32 v25, v18, v25
	v_fma_f32 v30, v17, 2.0, -v23
	v_fma_f32 v17, v19, 2.0, -v20
	;; [unrolled: 1-line block ×4, first 2 shown]
	s_delay_alu instid0(VALU_DEP_3) | instskip(NEXT) | instid1(VALU_DEP_2)
	v_sub_f32_e32 v38, v30, v17
	v_sub_f32_e32 v20, v18, v28
	v_fma_f32 v28, v29, 2.0, -v37
	s_delay_alu instid0(VALU_DEP_3) | instskip(NEXT) | instid1(VALU_DEP_3)
	v_fma_f32 v29, v30, 2.0, -v38
	v_fma_f32 v23, v18, 2.0, -v20
	v_add_f32_e32 v20, v37, v20
	v_fma_f32 v19, v39, 2.0, -v26
	v_fma_f32 v39, v22, 2.0, -v35
	;; [unrolled: 1-line block ×3, first 2 shown]
	v_sub_f32_e32 v27, v56, v61
	s_delay_alu instid0(VALU_DEP_2) | instskip(NEXT) | instid1(VALU_DEP_2)
	v_dual_sub_f32 v23, v29, v23 :: v_dual_fmamk_f32 v18, v26, 0xbf3504f3, v39
	v_fma_f32 v31, v56, 2.0, -v27
	s_delay_alu instid0(VALU_DEP_2) | instskip(NEXT) | instid1(VALU_DEP_2)
	v_fma_f32 v29, v29, 2.0, -v23
	v_sub_f32_e32 v21, v19, v31
	s_delay_alu instid0(VALU_DEP_1) | instskip(NEXT) | instid1(VALU_DEP_1)
	v_fma_f32 v22, v19, 2.0, -v21
	v_dual_sub_f32 v21, v38, v21 :: v_dual_sub_f32 v22, v28, v22
	v_sub_f32_e32 v27, v25, v27
	s_delay_alu instid0(VALU_DEP_2) | instskip(NEXT) | instid1(VALU_DEP_2)
	v_fma_f32 v28, v28, 2.0, -v22
	v_fma_f32 v25, v25, 2.0, -v27
	v_fmamk_f32 v17, v27, 0x3f3504f3, v36
	v_fmac_f32_e32 v16, 0x3f3504f3, v27
	s_delay_alu instid0(VALU_DEP_3) | instskip(NEXT) | instid1(VALU_DEP_3)
	v_fmamk_f32 v19, v25, 0xbf3504f3, v43
	v_fmac_f32_e32 v17, 0xbf3504f3, v24
	v_fmac_f32_e32 v18, 0x3f3504f3, v25
	v_fma_f32 v24, v37, 2.0, -v20
	v_fma_f32 v25, v38, 2.0, -v21
	v_fmac_f32_e32 v19, 0xbf3504f3, v26
	v_fma_f32 v26, v35, 2.0, -v16
	v_fma_f32 v27, v36, 2.0, -v17
	;; [unrolled: 1-line block ×3, first 2 shown]
	s_delay_alu instid0(VALU_DEP_4)
	v_fma_f32 v31, v43, 2.0, -v19
	ds_store_2addr_b64 v34, v[24:25], v[26:27] offset0:26 offset1:247
	ds_store_2addr_b64 v33, v[22:23], v[18:19] offset0:20 offset1:241
	ds_store_2addr_b64 v58, v[28:29], v[30:31] offset1:221
	ds_store_2addr_b64 v32, v[20:21], v[16:17] offset0:14 offset1:235
	s_and_saveexec_b32 s1, s0
	s_cbranch_execz .LBB0_27
; %bb.26:
	v_add_nc_u32_e32 v16, 0x88, v42
	v_add_nc_u32_e32 v17, 0xffffffab, v42
	s_delay_alu instid0(VALU_DEP_1) | instskip(SKIP_1) | instid1(VALU_DEP_2)
	v_cndmask_b32_e64 v16, v17, v16, s0
	v_mov_b32_e32 v17, 0
	v_mul_i32_i24_e32 v16, 7, v16
	s_delay_alu instid0(VALU_DEP_1) | instskip(NEXT) | instid1(VALU_DEP_1)
	v_lshlrev_b64_e32 v[16:17], 3, v[16:17]
	v_add_co_u32 v28, s0, s8, v16
	s_wait_alu 0xf1ff
	s_delay_alu instid0(VALU_DEP_2)
	v_add_co_ci_u32_e64 v29, s0, s9, v17, s0
	s_clause 0x3
	global_load_b128 v[16:19], v[28:29], off offset:1648
	global_load_b128 v[20:23], v[28:29], off offset:1632
	;; [unrolled: 1-line block ×3, first 2 shown]
	global_load_b64 v[28:29], v[28:29], off offset:1680
	v_add_nc_u32_e32 v31, 0x1200, v58
	v_add_nc_u32_e32 v30, 0x400, v58
	s_wait_loadcnt 0x3
	v_mul_f32_e32 v32, v4, v19
	s_wait_loadcnt 0x2
	v_mul_f32_e32 v33, v9, v23
	;; [unrolled: 2-line block ×3, first 2 shown]
	s_wait_loadcnt 0x0
	v_dual_mul_f32 v38, v3, v29 :: v_dual_mul_f32 v27, v0, v27
	v_mul_f32_e32 v37, v11, v17
	v_dual_mul_f32 v36, v6, v25 :: v_dual_mul_f32 v23, v8, v23
	s_delay_alu instid0(VALU_DEP_3) | instskip(NEXT) | instid1(VALU_DEP_3)
	v_dual_fmac_f32 v38, v2, v28 :: v_dual_fmac_f32 v33, v8, v22
	v_fmac_f32_e32 v37, v10, v16
	v_mul_f32_e32 v17, v10, v17
	v_dual_mul_f32 v35, v14, v21 :: v_dual_fmac_f32 v34, v0, v26
	v_fma_f32 v1, v1, v26, -v27
	s_delay_alu instid0(VALU_DEP_4) | instskip(SKIP_4) | instid1(VALU_DEP_3)
	v_sub_f32_e32 v8, v37, v38
	v_mul_f32_e32 v19, v5, v19
	v_fma_f32 v5, v5, v18, -v32
	v_fma_f32 v0, v15, v20, -v35
	v_mul_f32_e32 v21, v15, v21
	v_dual_fmac_f32 v19, v4, v18 :: v_dual_sub_f32 v4, v13, v5
	v_mul_f32_e32 v29, v2, v29
	v_fma_f32 v2, v11, v16, -v17
	v_add_nc_u32_e32 v16, 0x1f00, v58
	s_delay_alu instid0(VALU_DEP_4)
	v_sub_f32_e32 v10, v12, v19
	v_fma_f32 v13, v13, 2.0, -v4
	v_mul_f32_e32 v25, v7, v25
	v_fma_f32 v7, v7, v24, -v36
	v_fma_f32 v3, v3, v28, -v29
	v_fmac_f32_e32 v21, v14, v20
	v_fma_f32 v12, v12, 2.0, -v10
	v_fmac_f32_e32 v25, v6, v24
	v_fma_f32 v6, v9, v22, -v23
	v_sub_f32_e32 v7, v0, v7
	s_delay_alu instid0(VALU_DEP_1) | instskip(SKIP_2) | instid1(VALU_DEP_3)
	v_dual_sub_f32 v1, v6, v1 :: v_dual_sub_f32 v14, v7, v8
	v_fma_f32 v19, v0, 2.0, -v7
	v_fma_f32 v8, v37, 2.0, -v8
	v_add_f32_e32 v17, v10, v1
	s_delay_alu instid0(VALU_DEP_4) | instskip(SKIP_2) | instid1(VALU_DEP_4)
	v_fma_f32 v23, v7, 2.0, -v14
	v_sub_f32_e32 v9, v21, v25
	v_fma_f32 v6, v6, 2.0, -v1
	v_fma_f32 v25, v10, 2.0, -v17
	s_delay_alu instid0(VALU_DEP_2) | instskip(NEXT) | instid1(VALU_DEP_1)
	v_dual_sub_f32 v3, v2, v3 :: v_dual_sub_f32 v20, v13, v6
	v_add_f32_e32 v15, v9, v3
	s_delay_alu instid0(VALU_DEP_1) | instskip(NEXT) | instid1(VALU_DEP_1)
	v_dual_sub_f32 v5, v33, v34 :: v_dual_fmamk_f32 v0, v15, 0x3f3504f3, v17
	v_sub_f32_e32 v11, v4, v5
	v_fma_f32 v24, v9, 2.0, -v15
	v_fma_f32 v5, v33, 2.0, -v5
	s_delay_alu instid0(VALU_DEP_4) | instskip(NEXT) | instid1(VALU_DEP_4)
	v_fmac_f32_e32 v0, 0x3f3504f3, v14
	v_fma_f32 v22, v4, 2.0, -v11
	s_delay_alu instid0(VALU_DEP_4) | instskip(SKIP_3) | instid1(VALU_DEP_4)
	v_fmamk_f32 v4, v24, 0xbf3504f3, v25
	v_fma_f32 v2, v2, 2.0, -v3
	v_fmamk_f32 v1, v14, 0x3f3504f3, v11
	v_fma_f32 v14, v13, 2.0, -v20
	v_fmac_f32_e32 v4, 0x3f3504f3, v23
	v_fma_f32 v18, v21, 2.0, -v9
	v_sub_f32_e32 v21, v19, v2
	s_delay_alu instid0(VALU_DEP_2) | instskip(SKIP_1) | instid1(VALU_DEP_3)
	v_dual_fmac_f32 v1, 0xbf3504f3, v15 :: v_dual_sub_f32 v6, v18, v8
	v_dual_sub_f32 v8, v12, v5 :: v_dual_fmamk_f32 v5, v23, 0xbf3504f3, v22
	v_fma_f32 v10, v19, 2.0, -v21
	s_delay_alu instid0(VALU_DEP_3) | instskip(NEXT) | instid1(VALU_DEP_4)
	v_fma_f32 v7, v11, 2.0, -v1
	v_sub_f32_e32 v3, v20, v6
	s_delay_alu instid0(VALU_DEP_4) | instskip(SKIP_4) | instid1(VALU_DEP_4)
	v_fma_f32 v19, v12, 2.0, -v8
	v_fma_f32 v12, v18, 2.0, -v6
	v_dual_add_f32 v2, v8, v21 :: v_dual_fmac_f32 v5, 0xbf3504f3, v24
	v_sub_f32_e32 v11, v14, v10
	v_fma_f32 v6, v17, 2.0, -v0
	v_sub_f32_e32 v10, v19, v12
	v_fma_f32 v9, v20, 2.0, -v3
	v_fma_f32 v8, v8, 2.0, -v2
	;; [unrolled: 1-line block ×6, first 2 shown]
	v_add_nc_u32_e32 v17, 0x2d00, v58
	ds_store_2addr_b64 v31, v[8:9], v[6:7] offset0:2 offset1:223
	ds_store_2addr_b64 v16, v[10:11], v[4:5] offset0:28 offset1:249
	;; [unrolled: 1-line block ×4, first 2 shown]
.LBB0_27:
	s_wait_alu 0xfffe
	s_or_b32 exec_lo, exec_lo, s1
	global_wb scope:SCOPE_SE
	s_wait_dscnt 0x0
	s_barrier_signal -1
	s_barrier_wait -1
	global_inv scope:SCOPE_SE
	s_and_saveexec_b32 s0, vcc_lo
	s_cbranch_execz .LBB0_29
; %bb.28:
	v_mul_lo_u32 v0, s3, v44
	v_mul_lo_u32 v1, s2, v45
	v_mad_co_u64_u32 v[4:5], null, s2, v44, 0
	v_dual_mov_b32 v43, 0 :: v_dual_add_nc_u32 v8, 0x88, v42
	v_lshl_add_u32 v18, v42, 3, 0
	v_lshlrev_b64_e32 v[6:7], 3, v[40:41]
	s_delay_alu instid0(VALU_DEP_3) | instskip(SKIP_1) | instid1(VALU_DEP_4)
	v_dual_mov_b32 v9, v43 :: v_dual_add_nc_u32 v10, 0x110, v42
	v_add3_u32 v5, v5, v1, v0
	v_dual_mov_b32 v11, v43 :: v_dual_add_nc_u32 v14, 0x800, v18
	ds_load_2addr_b64 v[0:3], v18 offset1:136
	v_lshlrev_b64_e32 v[12:13], 3, v[42:43]
	v_lshlrev_b64_e32 v[4:5], 3, v[4:5]
	v_lshlrev_b64_e32 v[8:9], 3, v[8:9]
	v_lshlrev_b64_e32 v[10:11], 3, v[10:11]
	v_dual_mov_b32 v17, v43 :: v_dual_add_nc_u32 v16, 0x220, v42
	v_add_nc_u32_e32 v19, 0x1000, v18
	v_add_co_u32 v4, vcc_lo, s6, v4
	s_wait_alu 0xfffd
	v_add_co_ci_u32_e32 v5, vcc_lo, s7, v5, vcc_lo
	v_mov_b32_e32 v15, v43
	s_delay_alu instid0(VALU_DEP_3) | instskip(SKIP_1) | instid1(VALU_DEP_3)
	v_add_co_u32 v20, vcc_lo, v4, v6
	s_wait_alu 0xfffd
	v_add_co_ci_u32_e32 v21, vcc_lo, v5, v7, vcc_lo
	ds_load_2addr_b64 v[4:7], v14 offset0:16 offset1:152
	v_add_nc_u32_e32 v14, 0x198, v42
	v_add_co_u32 v12, vcc_lo, v20, v12
	s_wait_alu 0xfffd
	v_add_co_ci_u32_e32 v13, vcc_lo, v21, v13, vcc_lo
	v_add_co_u32 v8, vcc_lo, v20, v8
	v_lshlrev_b64_e32 v[14:15], 3, v[14:15]
	s_wait_alu 0xfffd
	v_add_co_ci_u32_e32 v9, vcc_lo, v21, v9, vcc_lo
	v_add_co_u32 v10, vcc_lo, v20, v10
	s_wait_alu 0xfffd
	v_add_co_ci_u32_e32 v11, vcc_lo, v21, v11, vcc_lo
	v_add_co_u32 v14, vcc_lo, v20, v14
	s_wait_alu 0xfffd
	v_add_co_ci_u32_e32 v15, vcc_lo, v21, v15, vcc_lo
	s_wait_dscnt 0x1
	s_clause 0x1
	global_store_b64 v[12:13], v[0:1], off
	global_store_b64 v[8:9], v[2:3], off
	s_wait_dscnt 0x0
	s_clause 0x1
	global_store_b64 v[10:11], v[4:5], off
	global_store_b64 v[14:15], v[6:7], off
	v_lshlrev_b64_e32 v[4:5], 3, v[16:17]
	v_dual_mov_b32 v7, v43 :: v_dual_add_nc_u32 v6, 0x2a8, v42
	v_dual_mov_b32 v15, v43 :: v_dual_add_nc_u32 v14, 0x1800, v18
	ds_load_2addr_b64 v[0:3], v19 offset0:32 offset1:168
	v_add_co_u32 v10, vcc_lo, v20, v4
	v_dual_mov_b32 v9, v43 :: v_dual_add_nc_u32 v8, 0x330, v42
	s_wait_alu 0xfffd
	v_add_co_ci_u32_e32 v11, vcc_lo, v21, v5, vcc_lo
	v_lshlrev_b64_e32 v[12:13], 3, v[6:7]
	ds_load_2addr_b64 v[4:7], v14 offset0:48 offset1:184
	v_add_nc_u32_e32 v14, 0x3b8, v42
	v_lshlrev_b64_e32 v[8:9], 3, v[8:9]
	v_add_nc_u32_e32 v16, 0x440, v42
	v_add_nc_u32_e32 v19, 0x2000, v18
	v_add_co_u32 v12, vcc_lo, v20, v12
	v_lshlrev_b64_e32 v[14:15], 3, v[14:15]
	s_wait_alu 0xfffd
	v_add_co_ci_u32_e32 v13, vcc_lo, v21, v13, vcc_lo
	v_add_co_u32 v8, vcc_lo, v20, v8
	s_wait_alu 0xfffd
	v_add_co_ci_u32_e32 v9, vcc_lo, v21, v9, vcc_lo
	v_add_co_u32 v14, vcc_lo, v20, v14
	s_wait_alu 0xfffd
	v_add_co_ci_u32_e32 v15, vcc_lo, v21, v15, vcc_lo
	s_wait_dscnt 0x1
	s_clause 0x1
	global_store_b64 v[10:11], v[0:1], off
	global_store_b64 v[12:13], v[2:3], off
	s_wait_dscnt 0x0
	s_clause 0x1
	global_store_b64 v[8:9], v[4:5], off
	global_store_b64 v[14:15], v[6:7], off
	v_mov_b32_e32 v9, v43
	v_lshlrev_b64_e32 v[4:5], 3, v[16:17]
	v_dual_mov_b32 v15, v43 :: v_dual_add_nc_u32 v6, 0x4c8, v42
	v_dual_mov_b32 v7, v43 :: v_dual_add_nc_u32 v14, 0x2800, v18
	ds_load_2addr_b64 v[0:3], v19 offset0:64 offset1:200
	v_add_nc_u32_e32 v8, 0x550, v42
	v_add_co_u32 v10, vcc_lo, v20, v4
	s_wait_alu 0xfffd
	v_add_co_ci_u32_e32 v11, vcc_lo, v21, v5, vcc_lo
	v_lshlrev_b64_e32 v[12:13], 3, v[6:7]
	ds_load_2addr_b64 v[4:7], v14 offset0:80 offset1:216
	v_add_nc_u32_e32 v14, 0x5d8, v42
	ds_load_b64 v[16:17], v18 offset:13056
	v_lshlrev_b64_e32 v[8:9], 3, v[8:9]
	v_add_nc_u32_e32 v42, 0x660, v42
	v_add_co_u32 v12, vcc_lo, v20, v12
	v_lshlrev_b64_e32 v[14:15], 3, v[14:15]
	s_wait_alu 0xfffd
	v_add_co_ci_u32_e32 v13, vcc_lo, v21, v13, vcc_lo
	v_add_co_u32 v8, vcc_lo, v20, v8
	v_lshlrev_b64_e32 v[18:19], 3, v[42:43]
	s_wait_alu 0xfffd
	v_add_co_ci_u32_e32 v9, vcc_lo, v21, v9, vcc_lo
	v_add_co_u32 v14, vcc_lo, v20, v14
	s_wait_alu 0xfffd
	v_add_co_ci_u32_e32 v15, vcc_lo, v21, v15, vcc_lo
	v_add_co_u32 v18, vcc_lo, v20, v18
	s_wait_alu 0xfffd
	v_add_co_ci_u32_e32 v19, vcc_lo, v21, v19, vcc_lo
	s_wait_dscnt 0x2
	s_clause 0x1
	global_store_b64 v[10:11], v[0:1], off
	global_store_b64 v[12:13], v[2:3], off
	s_wait_dscnt 0x1
	s_clause 0x1
	global_store_b64 v[8:9], v[4:5], off
	global_store_b64 v[14:15], v[6:7], off
	s_wait_dscnt 0x0
	global_store_b64 v[18:19], v[16:17], off
.LBB0_29:
	s_nop 0
	s_sendmsg sendmsg(MSG_DEALLOC_VGPRS)
	s_endpgm
	.section	.rodata,"a",@progbits
	.p2align	6, 0x0
	.amdhsa_kernel fft_rtc_back_len1768_factors_17_13_8_wgs_136_tpt_136_halfLds_sp_op_CI_CI_unitstride_sbrr_C2R_dirReg
		.amdhsa_group_segment_fixed_size 0
		.amdhsa_private_segment_fixed_size 0
		.amdhsa_kernarg_size 104
		.amdhsa_user_sgpr_count 2
		.amdhsa_user_sgpr_dispatch_ptr 0
		.amdhsa_user_sgpr_queue_ptr 0
		.amdhsa_user_sgpr_kernarg_segment_ptr 1
		.amdhsa_user_sgpr_dispatch_id 0
		.amdhsa_user_sgpr_private_segment_size 0
		.amdhsa_wavefront_size32 1
		.amdhsa_uses_dynamic_stack 0
		.amdhsa_enable_private_segment 0
		.amdhsa_system_sgpr_workgroup_id_x 1
		.amdhsa_system_sgpr_workgroup_id_y 0
		.amdhsa_system_sgpr_workgroup_id_z 0
		.amdhsa_system_sgpr_workgroup_info 0
		.amdhsa_system_vgpr_workitem_id 0
		.amdhsa_next_free_vgpr 202
		.amdhsa_next_free_sgpr 39
		.amdhsa_reserve_vcc 1
		.amdhsa_float_round_mode_32 0
		.amdhsa_float_round_mode_16_64 0
		.amdhsa_float_denorm_mode_32 3
		.amdhsa_float_denorm_mode_16_64 3
		.amdhsa_fp16_overflow 0
		.amdhsa_workgroup_processor_mode 1
		.amdhsa_memory_ordered 1
		.amdhsa_forward_progress 0
		.amdhsa_round_robin_scheduling 0
		.amdhsa_exception_fp_ieee_invalid_op 0
		.amdhsa_exception_fp_denorm_src 0
		.amdhsa_exception_fp_ieee_div_zero 0
		.amdhsa_exception_fp_ieee_overflow 0
		.amdhsa_exception_fp_ieee_underflow 0
		.amdhsa_exception_fp_ieee_inexact 0
		.amdhsa_exception_int_div_zero 0
	.end_amdhsa_kernel
	.text
.Lfunc_end0:
	.size	fft_rtc_back_len1768_factors_17_13_8_wgs_136_tpt_136_halfLds_sp_op_CI_CI_unitstride_sbrr_C2R_dirReg, .Lfunc_end0-fft_rtc_back_len1768_factors_17_13_8_wgs_136_tpt_136_halfLds_sp_op_CI_CI_unitstride_sbrr_C2R_dirReg
                                        ; -- End function
	.section	.AMDGPU.csdata,"",@progbits
; Kernel info:
; codeLenInByte = 14320
; NumSgprs: 41
; NumVgprs: 202
; ScratchSize: 0
; MemoryBound: 0
; FloatMode: 240
; IeeeMode: 1
; LDSByteSize: 0 bytes/workgroup (compile time only)
; SGPRBlocks: 5
; VGPRBlocks: 25
; NumSGPRsForWavesPerEU: 41
; NumVGPRsForWavesPerEU: 202
; Occupancy: 7
; WaveLimiterHint : 1
; COMPUTE_PGM_RSRC2:SCRATCH_EN: 0
; COMPUTE_PGM_RSRC2:USER_SGPR: 2
; COMPUTE_PGM_RSRC2:TRAP_HANDLER: 0
; COMPUTE_PGM_RSRC2:TGID_X_EN: 1
; COMPUTE_PGM_RSRC2:TGID_Y_EN: 0
; COMPUTE_PGM_RSRC2:TGID_Z_EN: 0
; COMPUTE_PGM_RSRC2:TIDIG_COMP_CNT: 0
	.text
	.p2alignl 7, 3214868480
	.fill 96, 4, 3214868480
	.type	__hip_cuid_9547cb27577fa4e0,@object ; @__hip_cuid_9547cb27577fa4e0
	.section	.bss,"aw",@nobits
	.globl	__hip_cuid_9547cb27577fa4e0
__hip_cuid_9547cb27577fa4e0:
	.byte	0                               ; 0x0
	.size	__hip_cuid_9547cb27577fa4e0, 1

	.ident	"AMD clang version 19.0.0git (https://github.com/RadeonOpenCompute/llvm-project roc-6.4.0 25133 c7fe45cf4b819c5991fe208aaa96edf142730f1d)"
	.section	".note.GNU-stack","",@progbits
	.addrsig
	.addrsig_sym __hip_cuid_9547cb27577fa4e0
	.amdgpu_metadata
---
amdhsa.kernels:
  - .args:
      - .actual_access:  read_only
        .address_space:  global
        .offset:         0
        .size:           8
        .value_kind:     global_buffer
      - .offset:         8
        .size:           8
        .value_kind:     by_value
      - .actual_access:  read_only
        .address_space:  global
        .offset:         16
        .size:           8
        .value_kind:     global_buffer
      - .actual_access:  read_only
        .address_space:  global
        .offset:         24
        .size:           8
        .value_kind:     global_buffer
      - .actual_access:  read_only
        .address_space:  global
        .offset:         32
        .size:           8
        .value_kind:     global_buffer
      - .offset:         40
        .size:           8
        .value_kind:     by_value
      - .actual_access:  read_only
        .address_space:  global
        .offset:         48
        .size:           8
        .value_kind:     global_buffer
      - .actual_access:  read_only
        .address_space:  global
        .offset:         56
        .size:           8
        .value_kind:     global_buffer
      - .offset:         64
        .size:           4
        .value_kind:     by_value
      - .actual_access:  read_only
        .address_space:  global
        .offset:         72
        .size:           8
        .value_kind:     global_buffer
      - .actual_access:  read_only
        .address_space:  global
        .offset:         80
        .size:           8
        .value_kind:     global_buffer
      - .actual_access:  read_only
        .address_space:  global
        .offset:         88
        .size:           8
        .value_kind:     global_buffer
      - .actual_access:  write_only
        .address_space:  global
        .offset:         96
        .size:           8
        .value_kind:     global_buffer
    .group_segment_fixed_size: 0
    .kernarg_segment_align: 8
    .kernarg_segment_size: 104
    .language:       OpenCL C
    .language_version:
      - 2
      - 0
    .max_flat_workgroup_size: 136
    .name:           fft_rtc_back_len1768_factors_17_13_8_wgs_136_tpt_136_halfLds_sp_op_CI_CI_unitstride_sbrr_C2R_dirReg
    .private_segment_fixed_size: 0
    .sgpr_count:     41
    .sgpr_spill_count: 0
    .symbol:         fft_rtc_back_len1768_factors_17_13_8_wgs_136_tpt_136_halfLds_sp_op_CI_CI_unitstride_sbrr_C2R_dirReg.kd
    .uniform_work_group_size: 1
    .uses_dynamic_stack: false
    .vgpr_count:     202
    .vgpr_spill_count: 0
    .wavefront_size: 32
    .workgroup_processor_mode: 1
amdhsa.target:   amdgcn-amd-amdhsa--gfx1201
amdhsa.version:
  - 1
  - 2
...

	.end_amdgpu_metadata
